;; amdgpu-corpus repo=ROCm/rocThrust kind=compiled arch=gfx1250 opt=O3
	.amdgcn_target "amdgcn-amd-amdhsa--gfx1250"
	.amdhsa_code_object_version 6
	.section	.text._ZN6thrust23THRUST_200600_302600_NS11hip_rocprim14__parallel_for6kernelILj256ENS1_20__uninitialized_fill7functorINS0_10device_ptrIfEEfEEmLj1EEEvT0_T1_SA_,"axG",@progbits,_ZN6thrust23THRUST_200600_302600_NS11hip_rocprim14__parallel_for6kernelILj256ENS1_20__uninitialized_fill7functorINS0_10device_ptrIfEEfEEmLj1EEEvT0_T1_SA_,comdat
	.protected	_ZN6thrust23THRUST_200600_302600_NS11hip_rocprim14__parallel_for6kernelILj256ENS1_20__uninitialized_fill7functorINS0_10device_ptrIfEEfEEmLj1EEEvT0_T1_SA_ ; -- Begin function _ZN6thrust23THRUST_200600_302600_NS11hip_rocprim14__parallel_for6kernelILj256ENS1_20__uninitialized_fill7functorINS0_10device_ptrIfEEfEEmLj1EEEvT0_T1_SA_
	.globl	_ZN6thrust23THRUST_200600_302600_NS11hip_rocprim14__parallel_for6kernelILj256ENS1_20__uninitialized_fill7functorINS0_10device_ptrIfEEfEEmLj1EEEvT0_T1_SA_
	.p2align	8
	.type	_ZN6thrust23THRUST_200600_302600_NS11hip_rocprim14__parallel_for6kernelILj256ENS1_20__uninitialized_fill7functorINS0_10device_ptrIfEEfEEmLj1EEEvT0_T1_SA_,@function
_ZN6thrust23THRUST_200600_302600_NS11hip_rocprim14__parallel_for6kernelILj256ENS1_20__uninitialized_fill7functorINS0_10device_ptrIfEEfEEmLj1EEEvT0_T1_SA_: ; @_ZN6thrust23THRUST_200600_302600_NS11hip_rocprim14__parallel_for6kernelILj256ENS1_20__uninitialized_fill7functorINS0_10device_ptrIfEEfEEmLj1EEEvT0_T1_SA_
; %bb.0:
	s_load_b128 s[8:11], s[0:1], 0x10
	s_bfe_u32 s2, ttmp6, 0x4000c
	s_and_b32 s3, ttmp6, 15
	s_add_co_i32 s2, s2, 1
	s_getreg_b32 s4, hwreg(HW_REG_IB_STS2, 6, 4)
	s_mul_i32 s2, ttmp9, s2
	s_delay_alu instid0(SALU_CYCLE_1)
	s_add_co_i32 s3, s3, s2
	s_cmp_eq_u32 s4, 0
	s_load_b96 s[4:6], s[0:1], 0x0
	s_wait_xcnt 0x0
	s_cselect_b32 s0, ttmp9, s3
	s_mov_b32 s1, 0
	s_lshl_b32 s0, s0, 8
	s_wait_kmcnt 0x0
	s_add_nc_u64 s[0:1], s[10:11], s[0:1]
	s_delay_alu instid0(SALU_CYCLE_1) | instskip(NEXT) | instid1(SALU_CYCLE_1)
	s_sub_nc_u64 s[2:3], s[8:9], s[0:1]
	v_cmp_lt_u64_e64 s3, 0xff, s[2:3]
	s_and_b32 vcc_lo, exec_lo, s3
	s_mov_b32 s3, -1
	s_cbranch_vccz .LBB0_3
; %bb.1:
	s_and_not1_b32 vcc_lo, exec_lo, s3
	s_cbranch_vccz .LBB0_6
.LBB0_2:
	s_endpgm
.LBB0_3:
	v_cmp_gt_u32_e32 vcc_lo, s2, v0
	s_and_saveexec_b32 s2, vcc_lo
	s_cbranch_execz .LBB0_5
; %bb.4:
	v_mov_b32_e32 v1, s6
	s_lshl_b64 s[8:9], s[0:1], 2
	s_delay_alu instid0(SALU_CYCLE_1)
	s_add_nc_u64 s[8:9], s[4:5], s[8:9]
	flat_store_b32 v0, v1, s[8:9] scale_offset
.LBB0_5:
	s_wait_xcnt 0x0
	s_or_b32 exec_lo, exec_lo, s2
	s_cbranch_execnz .LBB0_2
.LBB0_6:
	v_mov_b32_e32 v1, s6
	s_lshl_b64 s[0:1], s[0:1], 2
	s_delay_alu instid0(SALU_CYCLE_1)
	s_add_nc_u64 s[0:1], s[4:5], s[0:1]
	flat_store_b32 v0, v1, s[0:1] scale_offset
	s_endpgm
	.section	.rodata,"a",@progbits
	.p2align	6, 0x0
	.amdhsa_kernel _ZN6thrust23THRUST_200600_302600_NS11hip_rocprim14__parallel_for6kernelILj256ENS1_20__uninitialized_fill7functorINS0_10device_ptrIfEEfEEmLj1EEEvT0_T1_SA_
		.amdhsa_group_segment_fixed_size 0
		.amdhsa_private_segment_fixed_size 0
		.amdhsa_kernarg_size 32
		.amdhsa_user_sgpr_count 2
		.amdhsa_user_sgpr_dispatch_ptr 0
		.amdhsa_user_sgpr_queue_ptr 0
		.amdhsa_user_sgpr_kernarg_segment_ptr 1
		.amdhsa_user_sgpr_dispatch_id 0
		.amdhsa_user_sgpr_kernarg_preload_length 0
		.amdhsa_user_sgpr_kernarg_preload_offset 0
		.amdhsa_user_sgpr_private_segment_size 0
		.amdhsa_wavefront_size32 1
		.amdhsa_uses_dynamic_stack 0
		.amdhsa_enable_private_segment 0
		.amdhsa_system_sgpr_workgroup_id_x 1
		.amdhsa_system_sgpr_workgroup_id_y 0
		.amdhsa_system_sgpr_workgroup_id_z 0
		.amdhsa_system_sgpr_workgroup_info 0
		.amdhsa_system_vgpr_workitem_id 0
		.amdhsa_next_free_vgpr 2
		.amdhsa_next_free_sgpr 12
		.amdhsa_named_barrier_count 0
		.amdhsa_reserve_vcc 1
		.amdhsa_float_round_mode_32 0
		.amdhsa_float_round_mode_16_64 0
		.amdhsa_float_denorm_mode_32 3
		.amdhsa_float_denorm_mode_16_64 3
		.amdhsa_fp16_overflow 0
		.amdhsa_memory_ordered 1
		.amdhsa_forward_progress 1
		.amdhsa_inst_pref_size 2
		.amdhsa_round_robin_scheduling 0
		.amdhsa_exception_fp_ieee_invalid_op 0
		.amdhsa_exception_fp_denorm_src 0
		.amdhsa_exception_fp_ieee_div_zero 0
		.amdhsa_exception_fp_ieee_overflow 0
		.amdhsa_exception_fp_ieee_underflow 0
		.amdhsa_exception_fp_ieee_inexact 0
		.amdhsa_exception_int_div_zero 0
	.end_amdhsa_kernel
	.section	.text._ZN6thrust23THRUST_200600_302600_NS11hip_rocprim14__parallel_for6kernelILj256ENS1_20__uninitialized_fill7functorINS0_10device_ptrIfEEfEEmLj1EEEvT0_T1_SA_,"axG",@progbits,_ZN6thrust23THRUST_200600_302600_NS11hip_rocprim14__parallel_for6kernelILj256ENS1_20__uninitialized_fill7functorINS0_10device_ptrIfEEfEEmLj1EEEvT0_T1_SA_,comdat
.Lfunc_end0:
	.size	_ZN6thrust23THRUST_200600_302600_NS11hip_rocprim14__parallel_for6kernelILj256ENS1_20__uninitialized_fill7functorINS0_10device_ptrIfEEfEEmLj1EEEvT0_T1_SA_, .Lfunc_end0-_ZN6thrust23THRUST_200600_302600_NS11hip_rocprim14__parallel_for6kernelILj256ENS1_20__uninitialized_fill7functorINS0_10device_ptrIfEEfEEmLj1EEEvT0_T1_SA_
                                        ; -- End function
	.set _ZN6thrust23THRUST_200600_302600_NS11hip_rocprim14__parallel_for6kernelILj256ENS1_20__uninitialized_fill7functorINS0_10device_ptrIfEEfEEmLj1EEEvT0_T1_SA_.num_vgpr, 2
	.set _ZN6thrust23THRUST_200600_302600_NS11hip_rocprim14__parallel_for6kernelILj256ENS1_20__uninitialized_fill7functorINS0_10device_ptrIfEEfEEmLj1EEEvT0_T1_SA_.num_agpr, 0
	.set _ZN6thrust23THRUST_200600_302600_NS11hip_rocprim14__parallel_for6kernelILj256ENS1_20__uninitialized_fill7functorINS0_10device_ptrIfEEfEEmLj1EEEvT0_T1_SA_.numbered_sgpr, 12
	.set _ZN6thrust23THRUST_200600_302600_NS11hip_rocprim14__parallel_for6kernelILj256ENS1_20__uninitialized_fill7functorINS0_10device_ptrIfEEfEEmLj1EEEvT0_T1_SA_.num_named_barrier, 0
	.set _ZN6thrust23THRUST_200600_302600_NS11hip_rocprim14__parallel_for6kernelILj256ENS1_20__uninitialized_fill7functorINS0_10device_ptrIfEEfEEmLj1EEEvT0_T1_SA_.private_seg_size, 0
	.set _ZN6thrust23THRUST_200600_302600_NS11hip_rocprim14__parallel_for6kernelILj256ENS1_20__uninitialized_fill7functorINS0_10device_ptrIfEEfEEmLj1EEEvT0_T1_SA_.uses_vcc, 1
	.set _ZN6thrust23THRUST_200600_302600_NS11hip_rocprim14__parallel_for6kernelILj256ENS1_20__uninitialized_fill7functorINS0_10device_ptrIfEEfEEmLj1EEEvT0_T1_SA_.uses_flat_scratch, 0
	.set _ZN6thrust23THRUST_200600_302600_NS11hip_rocprim14__parallel_for6kernelILj256ENS1_20__uninitialized_fill7functorINS0_10device_ptrIfEEfEEmLj1EEEvT0_T1_SA_.has_dyn_sized_stack, 0
	.set _ZN6thrust23THRUST_200600_302600_NS11hip_rocprim14__parallel_for6kernelILj256ENS1_20__uninitialized_fill7functorINS0_10device_ptrIfEEfEEmLj1EEEvT0_T1_SA_.has_recursion, 0
	.set _ZN6thrust23THRUST_200600_302600_NS11hip_rocprim14__parallel_for6kernelILj256ENS1_20__uninitialized_fill7functorINS0_10device_ptrIfEEfEEmLj1EEEvT0_T1_SA_.has_indirect_call, 0
	.section	.AMDGPU.csdata,"",@progbits
; Kernel info:
; codeLenInByte = 204
; TotalNumSgprs: 14
; NumVgprs: 2
; ScratchSize: 0
; MemoryBound: 0
; FloatMode: 240
; IeeeMode: 1
; LDSByteSize: 0 bytes/workgroup (compile time only)
; SGPRBlocks: 0
; VGPRBlocks: 0
; NumSGPRsForWavesPerEU: 14
; NumVGPRsForWavesPerEU: 2
; NamedBarCnt: 0
; Occupancy: 16
; WaveLimiterHint : 0
; COMPUTE_PGM_RSRC2:SCRATCH_EN: 0
; COMPUTE_PGM_RSRC2:USER_SGPR: 2
; COMPUTE_PGM_RSRC2:TRAP_HANDLER: 0
; COMPUTE_PGM_RSRC2:TGID_X_EN: 1
; COMPUTE_PGM_RSRC2:TGID_Y_EN: 0
; COMPUTE_PGM_RSRC2:TGID_Z_EN: 0
; COMPUTE_PGM_RSRC2:TIDIG_COMP_CNT: 0
	.section	.text._ZN7rocprim17ROCPRIM_400000_NS6detail17trampoline_kernelINS0_14default_configENS1_22reduce_config_selectorIN6thrust23THRUST_200600_302600_NS5tupleIbffNS6_9null_typeES8_S8_S8_S8_S8_S8_EEEEZNS1_11reduce_implILb1ES3_PS9_SC_S9_12reduce_tupleIifEEE10hipError_tPvRmT1_T2_T3_mT4_P12ihipStream_tbEUlT_E0_NS1_11comp_targetILNS1_3genE0ELNS1_11target_archE4294967295ELNS1_3gpuE0ELNS1_3repE0EEENS1_30default_config_static_selectorELNS0_4arch9wavefront6targetE0EEEvSI_,"axG",@progbits,_ZN7rocprim17ROCPRIM_400000_NS6detail17trampoline_kernelINS0_14default_configENS1_22reduce_config_selectorIN6thrust23THRUST_200600_302600_NS5tupleIbffNS6_9null_typeES8_S8_S8_S8_S8_S8_EEEEZNS1_11reduce_implILb1ES3_PS9_SC_S9_12reduce_tupleIifEEE10hipError_tPvRmT1_T2_T3_mT4_P12ihipStream_tbEUlT_E0_NS1_11comp_targetILNS1_3genE0ELNS1_11target_archE4294967295ELNS1_3gpuE0ELNS1_3repE0EEENS1_30default_config_static_selectorELNS0_4arch9wavefront6targetE0EEEvSI_,comdat
	.protected	_ZN7rocprim17ROCPRIM_400000_NS6detail17trampoline_kernelINS0_14default_configENS1_22reduce_config_selectorIN6thrust23THRUST_200600_302600_NS5tupleIbffNS6_9null_typeES8_S8_S8_S8_S8_S8_EEEEZNS1_11reduce_implILb1ES3_PS9_SC_S9_12reduce_tupleIifEEE10hipError_tPvRmT1_T2_T3_mT4_P12ihipStream_tbEUlT_E0_NS1_11comp_targetILNS1_3genE0ELNS1_11target_archE4294967295ELNS1_3gpuE0ELNS1_3repE0EEENS1_30default_config_static_selectorELNS0_4arch9wavefront6targetE0EEEvSI_ ; -- Begin function _ZN7rocprim17ROCPRIM_400000_NS6detail17trampoline_kernelINS0_14default_configENS1_22reduce_config_selectorIN6thrust23THRUST_200600_302600_NS5tupleIbffNS6_9null_typeES8_S8_S8_S8_S8_S8_EEEEZNS1_11reduce_implILb1ES3_PS9_SC_S9_12reduce_tupleIifEEE10hipError_tPvRmT1_T2_T3_mT4_P12ihipStream_tbEUlT_E0_NS1_11comp_targetILNS1_3genE0ELNS1_11target_archE4294967295ELNS1_3gpuE0ELNS1_3repE0EEENS1_30default_config_static_selectorELNS0_4arch9wavefront6targetE0EEEvSI_
	.globl	_ZN7rocprim17ROCPRIM_400000_NS6detail17trampoline_kernelINS0_14default_configENS1_22reduce_config_selectorIN6thrust23THRUST_200600_302600_NS5tupleIbffNS6_9null_typeES8_S8_S8_S8_S8_S8_EEEEZNS1_11reduce_implILb1ES3_PS9_SC_S9_12reduce_tupleIifEEE10hipError_tPvRmT1_T2_T3_mT4_P12ihipStream_tbEUlT_E0_NS1_11comp_targetILNS1_3genE0ELNS1_11target_archE4294967295ELNS1_3gpuE0ELNS1_3repE0EEENS1_30default_config_static_selectorELNS0_4arch9wavefront6targetE0EEEvSI_
	.p2align	8
	.type	_ZN7rocprim17ROCPRIM_400000_NS6detail17trampoline_kernelINS0_14default_configENS1_22reduce_config_selectorIN6thrust23THRUST_200600_302600_NS5tupleIbffNS6_9null_typeES8_S8_S8_S8_S8_S8_EEEEZNS1_11reduce_implILb1ES3_PS9_SC_S9_12reduce_tupleIifEEE10hipError_tPvRmT1_T2_T3_mT4_P12ihipStream_tbEUlT_E0_NS1_11comp_targetILNS1_3genE0ELNS1_11target_archE4294967295ELNS1_3gpuE0ELNS1_3repE0EEENS1_30default_config_static_selectorELNS0_4arch9wavefront6targetE0EEEvSI_,@function
_ZN7rocprim17ROCPRIM_400000_NS6detail17trampoline_kernelINS0_14default_configENS1_22reduce_config_selectorIN6thrust23THRUST_200600_302600_NS5tupleIbffNS6_9null_typeES8_S8_S8_S8_S8_S8_EEEEZNS1_11reduce_implILb1ES3_PS9_SC_S9_12reduce_tupleIifEEE10hipError_tPvRmT1_T2_T3_mT4_P12ihipStream_tbEUlT_E0_NS1_11comp_targetILNS1_3genE0ELNS1_11target_archE4294967295ELNS1_3gpuE0ELNS1_3repE0EEENS1_30default_config_static_selectorELNS0_4arch9wavefront6targetE0EEEvSI_: ; @_ZN7rocprim17ROCPRIM_400000_NS6detail17trampoline_kernelINS0_14default_configENS1_22reduce_config_selectorIN6thrust23THRUST_200600_302600_NS5tupleIbffNS6_9null_typeES8_S8_S8_S8_S8_S8_EEEEZNS1_11reduce_implILb1ES3_PS9_SC_S9_12reduce_tupleIifEEE10hipError_tPvRmT1_T2_T3_mT4_P12ihipStream_tbEUlT_E0_NS1_11comp_targetILNS1_3genE0ELNS1_11target_archE4294967295ELNS1_3gpuE0ELNS1_3repE0EEENS1_30default_config_static_selectorELNS0_4arch9wavefront6targetE0EEEvSI_
; %bb.0:
	s_load_b256 s[4:11], s[0:1], 0x0
	s_bfe_u32 s2, ttmp6, 0x4000c
	s_and_b32 s3, ttmp6, 15
	s_add_co_i32 s2, s2, 1
	s_getreg_b32 s12, hwreg(HW_REG_IB_STS2, 6, 4)
	s_mul_i32 s2, ttmp9, s2
	s_mov_b32 s19, 0
	s_add_co_i32 s3, s3, s2
	s_cmp_eq_u32 s12, 0
	s_load_b128 s[12:15], s[0:1], 0x20
	s_cselect_b32 s16, ttmp9, s3
	s_mov_b32 s17, s19
	s_lshl_b32 s18, s16, 8
	s_wait_kmcnt 0x0
	s_mul_u64 s[2:3], s[6:7], 12
	s_delay_alu instid0(SALU_CYCLE_1) | instskip(SKIP_1) | instid1(SALU_CYCLE_1)
	s_add_nc_u64 s[2:3], s[4:5], s[2:3]
	s_mul_u64 s[4:5], s[18:19], 12
	s_add_nc_u64 s[2:3], s[2:3], s[4:5]
	s_delay_alu instid0(SALU_CYCLE_1) | instskip(SKIP_1) | instid1(SALU_CYCLE_1)
	v_mad_nc_u64_u32 v[4:5], v0, 12, s[2:3]
	s_lshr_b64 s[2:3], s[8:9], 8
	s_cmp_lg_u64 s[2:3], s[16:17]
	s_cbranch_scc0 .LBB1_54
; %bb.1:
	s_clause 0x3
	global_load_u8 v8, v[4:5], off
	global_load_u8 v1, v[4:5], off offset:1536
	global_load_b64 v[6:7], v[4:5], off offset:1540
	global_load_b64 v[2:3], v[4:5], off offset:4
	s_mov_b32 s2, exec_lo
	s_wait_loadcnt 0x2
	v_and_b32_e32 v9, v1, v8
	s_delay_alu instid0(VALU_DEP_1) | instskip(SKIP_1) | instid1(VALU_DEP_1)
	v_and_b32_e32 v9, 1, v9
	s_wait_xcnt 0x0
	v_cmpx_eq_u32_e32 1, v9
	s_xor_b32 s2, exec_lo, s2
	s_cbranch_execz .LBB1_3
; %bb.2:
	s_wait_loadcnt 0x0
	v_cmp_lt_f32_e32 vcc_lo, v3, v7
                                        ; implicit-def: $vgpr1
                                        ; implicit-def: $vgpr8
	v_cndmask_b32_e32 v3, v3, v7, vcc_lo
	v_cmp_lt_f32_e32 vcc_lo, v6, v2
	v_cndmask_b32_e32 v2, v2, v6, vcc_lo
                                        ; implicit-def: $vgpr6_vgpr7
.LBB1_3:
	s_or_saveexec_b32 s2, s2
	v_mov_b32_e32 v9, 1
	s_xor_b32 exec_lo, exec_lo, s2
	s_cbranch_execz .LBB1_7
; %bb.4:
	v_dual_mov_b32 v9, 1 :: v_dual_bitop2_b32 v8, 1, v8 bitop3:0x40
	s_delay_alu instid0(VALU_DEP_1) | instskip(SKIP_1) | instid1(SALU_CYCLE_1)
	v_cmp_eq_u32_e32 vcc_lo, 1, v8
	s_xor_b32 s4, vcc_lo, -1
	s_and_saveexec_b32 s3, s4
	s_cbranch_execz .LBB1_6
; %bb.5:
	s_wait_loadcnt 0x0
	v_mov_b64_e32 v[2:3], v[6:7]
	v_mov_b32_e32 v9, v1
.LBB1_6:
	s_or_b32 exec_lo, exec_lo, s3
.LBB1_7:
	s_delay_alu instid0(SALU_CYCLE_1) | instskip(NEXT) | instid1(VALU_DEP_1)
	s_or_b32 exec_lo, exec_lo, s2
	v_and_b32_e32 v8, 0xff, v9
	s_wait_loadcnt 0x1
	v_and_b32_e32 v6, 1, v9
	s_wait_loadcnt 0x0
	v_mov_b32_dpp v7, v3 quad_perm:[1,0,3,2] row_mask:0xf bank_mask:0xf
	v_mov_b32_dpp v1, v8 quad_perm:[1,0,3,2] row_mask:0xf bank_mask:0xf
	s_delay_alu instid0(VALU_DEP_3) | instskip(SKIP_1) | instid1(VALU_DEP_3)
	v_cmp_eq_u32_e64 s2, 1, v6
	v_mov_b32_dpp v6, v2 quad_perm:[1,0,3,2] row_mask:0xf bank_mask:0xf
	v_and_b32_e32 v1, 1, v1
	s_delay_alu instid0(VALU_DEP_1) | instskip(SKIP_1) | instid1(SALU_CYCLE_1)
	v_cmp_eq_u32_e32 vcc_lo, 1, v1
                                        ; implicit-def: $vgpr1
	s_and_b32 s2, vcc_lo, s2
	s_xor_b32 s2, s2, -1
	s_delay_alu instid0(SALU_CYCLE_1) | instskip(NEXT) | instid1(SALU_CYCLE_1)
	s_and_saveexec_b32 s3, s2
	s_xor_b32 s2, exec_lo, s3
	s_cbranch_execz .LBB1_11
; %bb.8:
	v_mov_b32_e32 v1, 1
	s_xor_b32 s4, vcc_lo, -1
	s_delay_alu instid0(SALU_CYCLE_1)
	s_and_saveexec_b32 s3, s4
; %bb.9:
	v_mov_b64_e32 v[6:7], v[2:3]
	v_mov_b32_e32 v1, v8
; %bb.10:
	s_or_b32 exec_lo, exec_lo, s3
                                        ; implicit-def: $vgpr2_vgpr3
.LBB1_11:
	s_and_not1_saveexec_b32 s2, s2
; %bb.12:
	s_delay_alu instid0(VALU_DEP_2) | instskip(SKIP_1) | instid1(VALU_DEP_4)
	v_cmp_lt_f32_e32 vcc_lo, v7, v3
	v_dual_mov_b32 v1, 1 :: v_dual_cndmask_b32 v7, v7, v3, vcc_lo
	v_cmp_lt_f32_e32 vcc_lo, v2, v6
	v_cndmask_b32_e32 v6, v6, v2, vcc_lo
; %bb.13:
	s_or_b32 exec_lo, exec_lo, s2
	s_delay_alu instid0(VALU_DEP_3) | instskip(NEXT) | instid1(VALU_DEP_1)
	v_mov_b32_dpp v2, v1 quad_perm:[2,3,0,1] row_mask:0xf bank_mask:0xf
	v_and_b32_e32 v3, v2, v1
	v_and_b32_e32 v8, 1, v2
	v_mov_b32_dpp v2, v6 quad_perm:[2,3,0,1] row_mask:0xf bank_mask:0xf
	s_delay_alu instid0(VALU_DEP_3) | instskip(SKIP_1) | instid1(VALU_DEP_4)
	v_and_b32_e32 v9, 1, v3
	v_mov_b32_dpp v3, v7 quad_perm:[2,3,0,1] row_mask:0xf bank_mask:0xf
	v_cmp_ne_u32_e32 vcc_lo, 1, v8
                                        ; implicit-def: $vgpr8
	s_delay_alu instid0(VALU_DEP_3) | instskip(SKIP_1) | instid1(SALU_CYCLE_1)
	v_cmp_ne_u32_e64 s2, 1, v9
	s_and_saveexec_b32 s3, s2
	s_xor_b32 s2, exec_lo, s3
	s_cbranch_execz .LBB1_17
; %bb.14:
	v_mov_b32_e32 v8, 1
	s_and_saveexec_b32 s3, vcc_lo
; %bb.15:
	v_mov_b64_e32 v[2:3], v[6:7]
	v_mov_b32_e32 v8, v1
; %bb.16:
	s_or_b32 exec_lo, exec_lo, s3
                                        ; implicit-def: $vgpr6_vgpr7
.LBB1_17:
	s_and_not1_saveexec_b32 s2, s2
; %bb.18:
	s_delay_alu instid0(VALU_DEP_2) | instskip(SKIP_1) | instid1(VALU_DEP_4)
	v_cmp_lt_f32_e32 vcc_lo, v3, v7
	v_dual_mov_b32 v8, 1 :: v_dual_cndmask_b32 v3, v3, v7
	v_cmp_lt_f32_e32 vcc_lo, v6, v2
	v_cndmask_b32_e32 v2, v2, v6, vcc_lo
; %bb.19:
	s_or_b32 exec_lo, exec_lo, s2
	s_delay_alu instid0(VALU_DEP_3) | instskip(SKIP_1) | instid1(VALU_DEP_2)
	v_mov_b32_dpp v1, v8 row_ror:4 row_mask:0xf bank_mask:0xf
	v_mov_b32_dpp v7, v3 row_ror:4 row_mask:0xf bank_mask:0xf
	v_and_b32_e32 v6, v1, v8
	v_and_b32_e32 v1, 1, v1
	s_delay_alu instid0(VALU_DEP_2) | instskip(SKIP_1) | instid1(VALU_DEP_3)
	v_and_b32_e32 v9, 1, v6
	v_mov_b32_dpp v6, v2 row_ror:4 row_mask:0xf bank_mask:0xf
	v_cmp_ne_u32_e32 vcc_lo, 1, v1
                                        ; implicit-def: $vgpr1
	s_delay_alu instid0(VALU_DEP_3) | instskip(SKIP_1) | instid1(SALU_CYCLE_1)
	v_cmp_ne_u32_e64 s2, 1, v9
	s_and_saveexec_b32 s3, s2
	s_xor_b32 s2, exec_lo, s3
	s_cbranch_execz .LBB1_23
; %bb.20:
	v_mov_b32_e32 v1, 1
	s_and_saveexec_b32 s3, vcc_lo
; %bb.21:
	v_mov_b64_e32 v[6:7], v[2:3]
	v_mov_b32_e32 v1, v8
; %bb.22:
	s_or_b32 exec_lo, exec_lo, s3
                                        ; implicit-def: $vgpr2_vgpr3
.LBB1_23:
	s_and_not1_saveexec_b32 s2, s2
; %bb.24:
	s_delay_alu instid0(VALU_DEP_2) | instskip(SKIP_1) | instid1(VALU_DEP_4)
	v_cmp_lt_f32_e32 vcc_lo, v7, v3
	v_dual_mov_b32 v1, 1 :: v_dual_cndmask_b32 v7, v7, v3, vcc_lo
	v_cmp_lt_f32_e32 vcc_lo, v2, v6
	v_cndmask_b32_e32 v6, v6, v2, vcc_lo
; %bb.25:
	s_or_b32 exec_lo, exec_lo, s2
	s_delay_alu instid0(VALU_DEP_3) | instskip(NEXT) | instid1(VALU_DEP_1)
	v_mov_b32_dpp v2, v1 row_ror:8 row_mask:0xf bank_mask:0xf
	v_and_b32_e32 v3, v2, v1
	v_and_b32_e32 v8, 1, v2
	v_mov_b32_dpp v2, v6 row_ror:8 row_mask:0xf bank_mask:0xf
	s_delay_alu instid0(VALU_DEP_3) | instskip(SKIP_1) | instid1(VALU_DEP_4)
	v_and_b32_e32 v9, 1, v3
	v_mov_b32_dpp v3, v7 row_ror:8 row_mask:0xf bank_mask:0xf
	v_cmp_ne_u32_e32 vcc_lo, 1, v8
                                        ; implicit-def: $vgpr8
	s_delay_alu instid0(VALU_DEP_3) | instskip(SKIP_1) | instid1(SALU_CYCLE_1)
	v_cmp_ne_u32_e64 s2, 1, v9
	s_and_saveexec_b32 s3, s2
	s_xor_b32 s2, exec_lo, s3
	s_cbranch_execz .LBB1_29
; %bb.26:
	v_mov_b32_e32 v8, 1
	s_and_saveexec_b32 s3, vcc_lo
; %bb.27:
	v_mov_b64_e32 v[2:3], v[6:7]
	v_mov_b32_e32 v8, v1
; %bb.28:
	s_or_b32 exec_lo, exec_lo, s3
                                        ; implicit-def: $vgpr6_vgpr7
.LBB1_29:
	s_and_not1_saveexec_b32 s2, s2
; %bb.30:
	s_delay_alu instid0(VALU_DEP_2) | instskip(SKIP_1) | instid1(VALU_DEP_4)
	v_cmp_lt_f32_e32 vcc_lo, v3, v7
	v_dual_mov_b32 v8, 1 :: v_dual_cndmask_b32 v3, v3, v7
	v_cmp_lt_f32_e32 vcc_lo, v6, v2
	v_cndmask_b32_e32 v2, v2, v6, vcc_lo
; %bb.31:
	s_or_b32 exec_lo, exec_lo, s2
	ds_swizzle_b32 v1, v8 offset:swizzle(BROADCAST,32,15)
	ds_swizzle_b32 v6, v2 offset:swizzle(BROADCAST,32,15)
	ds_swizzle_b32 v7, v3 offset:swizzle(BROADCAST,32,15)
	s_wait_dscnt 0x2
	v_and_b32_e32 v9, v1, v8
	v_and_b32_e32 v1, 1, v1
	s_delay_alu instid0(VALU_DEP_2) | instskip(NEXT) | instid1(VALU_DEP_2)
	v_and_b32_e32 v9, 1, v9
	v_cmp_ne_u32_e32 vcc_lo, 1, v1
                                        ; implicit-def: $vgpr1
	s_delay_alu instid0(VALU_DEP_2) | instskip(SKIP_1) | instid1(SALU_CYCLE_1)
	v_cmp_ne_u32_e64 s2, 1, v9
	s_and_saveexec_b32 s3, s2
	s_xor_b32 s2, exec_lo, s3
	s_cbranch_execz .LBB1_35
; %bb.32:
	v_mov_b32_e32 v1, 1
	s_and_saveexec_b32 s3, vcc_lo
	s_cbranch_execz .LBB1_34
; %bb.33:
	s_wait_dscnt 0x0
	v_mov_b64_e32 v[6:7], v[2:3]
	v_mov_b32_e32 v1, v8
.LBB1_34:
	s_or_b32 exec_lo, exec_lo, s3
                                        ; implicit-def: $vgpr2_vgpr3
.LBB1_35:
	s_and_not1_saveexec_b32 s2, s2
	s_cbranch_execz .LBB1_37
; %bb.36:
	s_wait_dscnt 0x0
	s_delay_alu instid0(VALU_DEP_2)
	v_cmp_lt_f32_e32 vcc_lo, v7, v3
	v_dual_mov_b32 v1, 1 :: v_dual_cndmask_b32 v7, v7, v3, vcc_lo
	v_cmp_lt_f32_e32 vcc_lo, v2, v6
	v_cndmask_b32_e32 v6, v6, v2, vcc_lo
.LBB1_37:
	s_or_b32 exec_lo, exec_lo, s2
	v_mov_b32_e32 v3, 0
	s_mov_b32 s2, exec_lo
	ds_bpermute_b32 v8, v3, v1 offset:124
	s_wait_dscnt 0x2
	ds_bpermute_b32 v2, v3, v6 offset:124
	s_wait_dscnt 0x2
	ds_bpermute_b32 v3, v3, v7 offset:124
	v_mbcnt_lo_u32_b32 v1, -1, 0
	s_delay_alu instid0(VALU_DEP_1)
	v_cmpx_eq_u32_e32 0, v1
	s_cbranch_execz .LBB1_39
; %bb.38:
	v_lshrrev_b32_e32 v6, 5, v0
	s_delay_alu instid0(VALU_DEP_1)
	v_mul_u32_u24_e32 v6, 12, v6
	s_wait_dscnt 0x2
	ds_store_b8 v6, v8 offset:48
	s_wait_dscnt 0x1
	ds_store_2addr_b32 v6, v2, v3 offset0:13 offset1:14
.LBB1_39:
	s_or_b32 exec_lo, exec_lo, s2
	s_delay_alu instid0(SALU_CYCLE_1)
	s_mov_b32 s2, exec_lo
	s_wait_dscnt 0x0
	s_barrier_signal -1
	s_barrier_wait -1
	v_cmpx_gt_u32_e32 32, v0
	s_cbranch_execz .LBB1_53
; %bb.40:
	v_and_b32_e32 v2, 3, v1
	s_mov_b32 s3, exec_lo
	s_delay_alu instid0(VALU_DEP_1) | instskip(SKIP_1) | instid1(VALU_DEP_1)
	v_cmp_ne_u32_e32 vcc_lo, 3, v2
	v_add_co_ci_u32_e64 v6, null, 0, v1, vcc_lo
	v_lshlrev_b32_e32 v9, 2, v6
	v_mul_u32_u24_e32 v3, 12, v2
	ds_load_u8 v10, v3 offset:48
	ds_load_2addr_b32 v[2:3], v3 offset0:13 offset1:14
	s_wait_dscnt 0x1
	v_and_b32_e32 v7, 0xff, v10
	s_wait_dscnt 0x0
	ds_bpermute_b32 v6, v9, v2
	ds_bpermute_b32 v8, v9, v7
	;; [unrolled: 1-line block ×3, first 2 shown]
	s_wait_dscnt 0x1
	v_and_b32_e32 v9, v10, v8
	s_delay_alu instid0(VALU_DEP_1) | instskip(NEXT) | instid1(VALU_DEP_1)
	v_and_b32_e32 v9, 1, v9
	v_cmpx_eq_u32_e32 1, v9
	s_xor_b32 s3, exec_lo, s3
	s_cbranch_execz .LBB1_42
; %bb.41:
	s_wait_dscnt 0x0
	v_cmp_gt_f32_e32 vcc_lo, v7, v3
                                        ; implicit-def: $vgpr8
                                        ; implicit-def: $vgpr10
	v_cndmask_b32_e32 v7, v3, v7, vcc_lo
	v_cmp_gt_f32_e32 vcc_lo, v2, v6
	v_cndmask_b32_e32 v6, v2, v6, vcc_lo
                                        ; implicit-def: $vgpr2_vgpr3
.LBB1_42:
	s_or_saveexec_b32 s3, s3
	v_dual_lshlrev_b32 v1, 2, v1 :: v_dual_mov_b32 v9, 1
	s_xor_b32 exec_lo, exec_lo, s3
	s_cbranch_execz .LBB1_46
; %bb.43:
	v_and_b32_e32 v9, 1, v10
	s_mov_b32 s4, exec_lo
	s_delay_alu instid0(VALU_DEP_1)
	v_cmpx_eq_u32_e32 1, v9
	s_cbranch_execz .LBB1_45
; %bb.44:
	s_wait_dscnt 0x0
	v_mov_b64_e32 v[6:7], v[2:3]
	v_mov_b32_e32 v8, 1
.LBB1_45:
	s_or_b32 exec_lo, exec_lo, s4
	s_delay_alu instid0(VALU_DEP_1)
	v_mov_b32_e32 v9, v8
.LBB1_46:
	s_or_b32 exec_lo, exec_lo, s3
	s_delay_alu instid0(VALU_DEP_1)
	v_and_b32_e32 v2, 0xff, v9
	v_or_b32_e32 v3, 8, v1
	s_mov_b32 s3, exec_lo
	ds_bpermute_b32 v1, v3, v2
	ds_bpermute_b32 v2, v3, v6
	s_wait_dscnt 0x2
	ds_bpermute_b32 v3, v3, v7
	s_wait_dscnt 0x2
	v_and_b32_e32 v8, v9, v1
	s_delay_alu instid0(VALU_DEP_1) | instskip(NEXT) | instid1(VALU_DEP_1)
	v_and_b32_e32 v8, 1, v8
	v_cmpx_eq_u32_e32 1, v8
	s_xor_b32 s3, exec_lo, s3
	s_cbranch_execz .LBB1_48
; %bb.47:
	s_wait_dscnt 0x0
	v_cmp_gt_f32_e32 vcc_lo, v3, v7
                                        ; implicit-def: $vgpr1
                                        ; implicit-def: $vgpr9
	v_cndmask_b32_e32 v3, v7, v3, vcc_lo
	v_cmp_gt_f32_e32 vcc_lo, v6, v2
	v_cndmask_b32_e32 v2, v6, v2, vcc_lo
                                        ; implicit-def: $vgpr6_vgpr7
.LBB1_48:
	s_or_saveexec_b32 s3, s3
	v_mov_b32_e32 v8, 1
	s_xor_b32 exec_lo, exec_lo, s3
	s_cbranch_execz .LBB1_52
; %bb.49:
	v_and_b32_e32 v8, 1, v9
	s_mov_b32 s4, exec_lo
	s_delay_alu instid0(VALU_DEP_1)
	v_cmpx_eq_u32_e32 1, v8
	s_cbranch_execz .LBB1_51
; %bb.50:
	s_wait_dscnt 0x0
	v_mov_b64_e32 v[2:3], v[6:7]
	v_mov_b32_e32 v1, 1
.LBB1_51:
	s_or_b32 exec_lo, exec_lo, s4
	s_delay_alu instid0(VALU_DEP_1)
	v_mov_b32_e32 v8, v1
.LBB1_52:
	s_or_b32 exec_lo, exec_lo, s3
.LBB1_53:
	s_delay_alu instid0(SALU_CYCLE_1)
	s_or_b32 exec_lo, exec_lo, s2
	s_load_b64 s[2:3], s[0:1], 0x34
	s_branch .LBB1_128
.LBB1_54:
                                        ; implicit-def: $vgpr2_vgpr3
                                        ; implicit-def: $vgpr8
	s_load_b64 s[2:3], s[0:1], 0x34
	s_cbranch_execz .LBB1_128
; %bb.55:
	v_mov_b64_e32 v[6:7], 0
	s_wait_dscnt 0x0
	v_mov_b64_e32 v[2:3], 0
	v_dual_mov_b32 v1, 0 :: v_dual_mov_b32 v9, 0
	s_sub_co_i32 s4, s8, s18
	s_mov_b32 s5, exec_lo
	v_cmpx_gt_u32_e64 s4, v0
	s_cbranch_execz .LBB1_57
; %bb.56:
	s_clause 0x1
	global_load_u8 v9, v[4:5], off
	global_load_b64 v[2:3], v[4:5], off offset:4
.LBB1_57:
	s_wait_xcnt 0x0
	s_or_b32 exec_lo, exec_lo, s5
	v_or_b32_e32 v8, 0x80, v0
	s_delay_alu instid0(VALU_DEP_1)
	v_cmp_gt_u32_e32 vcc_lo, s4, v8
	s_and_saveexec_b32 s5, vcc_lo
	s_cbranch_execz .LBB1_59
; %bb.58:
	s_clause 0x1
	global_load_u8 v1, v[4:5], off offset:1536
	global_load_b64 v[6:7], v[4:5], off offset:1540
.LBB1_59:
	s_wait_xcnt 0x0
	s_or_b32 exec_lo, exec_lo, s5
	s_and_saveexec_b32 s5, vcc_lo
	s_cbranch_execz .LBB1_67
; %bb.60:
	s_wait_loadcnt 0x1
	v_bitop3_b16 v4, v1, 0xff, v9 bitop3:0x80
	s_mov_b32 s6, exec_lo
	s_delay_alu instid0(VALU_DEP_1)
	v_cmpx_ne_u16_e32 0, v4
	s_xor_b32 s6, exec_lo, s6
	s_cbranch_execz .LBB1_62
; %bb.61:
	s_wait_loadcnt 0x0
	v_cmp_lt_f32_e32 vcc_lo, v3, v7
                                        ; implicit-def: $vgpr1
                                        ; implicit-def: $vgpr9
	v_cndmask_b32_e32 v3, v3, v7, vcc_lo
	v_cmp_lt_f32_e32 vcc_lo, v6, v2
	v_cndmask_b32_e32 v2, v2, v6, vcc_lo
                                        ; implicit-def: $vgpr6_vgpr7
.LBB1_62:
	s_or_saveexec_b32 s6, s6
	v_mov_b32_e32 v4, 1
	s_xor_b32 exec_lo, exec_lo, s6
	s_cbranch_execz .LBB1_66
; %bb.63:
	v_and_b32_e32 v4, 1, v9
	s_delay_alu instid0(VALU_DEP_1) | instskip(SKIP_2) | instid1(SALU_CYCLE_1)
	v_cmp_eq_u32_e32 vcc_lo, 1, v4
	v_mov_b32_e32 v4, 1
	s_xor_b32 s18, vcc_lo, -1
	s_and_saveexec_b32 s7, s18
	s_cbranch_execz .LBB1_65
; %bb.64:
	s_wait_loadcnt 0x0
	v_mov_b64_e32 v[2:3], v[6:7]
	v_mov_b32_e32 v4, v1
.LBB1_65:
	s_or_b32 exec_lo, exec_lo, s7
.LBB1_66:
	s_delay_alu instid0(SALU_CYCLE_1) | instskip(NEXT) | instid1(VALU_DEP_1)
	s_or_b32 exec_lo, exec_lo, s6
	v_mov_b32_e32 v9, v4
.LBB1_67:
	s_or_b32 exec_lo, exec_lo, s5
	s_wait_loadcnt 0x1
	v_mbcnt_lo_u32_b32 v1, -1, 0
	s_delay_alu instid0(VALU_DEP_2)
	v_and_b32_e32 v8, 0xff, v9
	s_wait_loadcnt 0x0
	v_and_b32_e32 v6, 0x60, v0
	s_min_u32 s4, s4, 0x80
	v_mov_b32_e32 v11, v3
	v_cmp_ne_u32_e32 vcc_lo, 31, v1
	v_add_nc_u32_e32 v10, 1, v1
	v_sub_nc_u32_e64 v6, s4, v6 clamp
	v_add_co_ci_u32_e64 v4, null, 0, v1, vcc_lo
	s_delay_alu instid0(VALU_DEP_2) | instskip(NEXT) | instid1(VALU_DEP_2)
	v_cmp_lt_u32_e32 vcc_lo, v10, v6
	v_dual_mov_b32 v10, v2 :: v_dual_lshlrev_b32 v5, 2, v4
	ds_bpermute_b32 v7, v5, v8
	ds_bpermute_b32 v4, v5, v2
	;; [unrolled: 1-line block ×3, first 2 shown]
	s_and_saveexec_b32 s5, vcc_lo
	s_delay_alu instid0(SALU_CYCLE_1)
	s_xor_b32 s5, exec_lo, s5
	s_cbranch_execz .LBB1_75
; %bb.68:
	s_wait_dscnt 0x2
	v_and_b32_e32 v8, v7, v8
	s_mov_b32 s6, exec_lo
	s_delay_alu instid0(VALU_DEP_1)
	v_cmpx_ne_u32_e32 0, v8
	s_xor_b32 s6, exec_lo, s6
	s_cbranch_execz .LBB1_70
; %bb.69:
	s_wait_dscnt 0x0
	v_cmp_lt_f32_e32 vcc_lo, v3, v5
                                        ; implicit-def: $vgpr7
                                        ; implicit-def: $vgpr9
	v_cndmask_b32_e32 v5, v3, v5, vcc_lo
	v_cmp_lt_f32_e32 vcc_lo, v4, v2
	v_cndmask_b32_e32 v4, v2, v4, vcc_lo
                                        ; implicit-def: $vgpr2_vgpr3
.LBB1_70:
	s_or_saveexec_b32 s6, s6
	v_mov_b32_e32 v8, 1
	s_xor_b32 exec_lo, exec_lo, s6
	s_cbranch_execz .LBB1_74
; %bb.71:
	v_and_b32_e32 v8, 1, v9
	s_mov_b32 s7, exec_lo
	s_delay_alu instid0(VALU_DEP_1)
	v_cmpx_eq_u32_e32 1, v8
	s_cbranch_execz .LBB1_73
; %bb.72:
	s_wait_dscnt 0x0
	v_mov_b64_e32 v[4:5], v[2:3]
	v_mov_b32_e32 v7, 1
.LBB1_73:
	s_or_b32 exec_lo, exec_lo, s7
	s_delay_alu instid0(VALU_DEP_1)
	v_mov_b32_e32 v8, v7
.LBB1_74:
	s_or_b32 exec_lo, exec_lo, s6
	s_wait_dscnt 0x0
	s_delay_alu instid0(VALU_DEP_3) | instskip(NEXT) | instid1(VALU_DEP_2)
	v_mov_b64_e32 v[2:3], v[4:5]
	v_and_b32_e32 v8, 0xff, v8
	v_dual_mov_b32 v10, v4 :: v_dual_mov_b32 v11, v5
.LBB1_75:
	s_or_b32 exec_lo, exec_lo, s5
	v_cmp_gt_u32_e32 vcc_lo, 30, v1
	v_add_nc_u32_e32 v9, 2, v1
	s_mov_b32 s5, exec_lo
	s_wait_dscnt 0x1
	v_cndmask_b32_e64 v4, 0, 2, vcc_lo
	s_wait_dscnt 0x0
	s_delay_alu instid0(VALU_DEP_1)
	v_add_lshl_u32 v5, v4, v1, 2
	ds_bpermute_b32 v7, v5, v8
	ds_bpermute_b32 v4, v5, v10
	;; [unrolled: 1-line block ×3, first 2 shown]
	v_cmpx_lt_u32_e64 v9, v6
	s_cbranch_execz .LBB1_83
; %bb.76:
	s_wait_dscnt 0x2
	v_and_b32_e32 v9, v8, v7
	s_mov_b32 s6, exec_lo
	s_delay_alu instid0(VALU_DEP_1) | instskip(NEXT) | instid1(VALU_DEP_1)
	v_and_b32_e32 v9, 1, v9
	v_cmpx_eq_u32_e32 1, v9
	s_xor_b32 s6, exec_lo, s6
	s_cbranch_execz .LBB1_78
; %bb.77:
	s_wait_dscnt 0x0
	v_cmp_lt_f32_e32 vcc_lo, v3, v5
                                        ; implicit-def: $vgpr7
                                        ; implicit-def: $vgpr8
	v_cndmask_b32_e32 v5, v3, v5, vcc_lo
	v_cmp_lt_f32_e32 vcc_lo, v4, v2
	v_cndmask_b32_e32 v4, v2, v4, vcc_lo
                                        ; implicit-def: $vgpr2_vgpr3
.LBB1_78:
	s_or_saveexec_b32 s6, s6
	v_mov_b32_e32 v9, 1
	s_xor_b32 exec_lo, exec_lo, s6
	s_cbranch_execz .LBB1_82
; %bb.79:
	v_and_b32_e32 v8, 1, v8
	s_mov_b32 s7, exec_lo
	s_delay_alu instid0(VALU_DEP_1)
	v_cmpx_eq_u32_e32 1, v8
	s_cbranch_execz .LBB1_81
; %bb.80:
	s_wait_dscnt 0x0
	v_mov_b64_e32 v[4:5], v[2:3]
	v_mov_b32_e32 v7, 1
.LBB1_81:
	s_or_b32 exec_lo, exec_lo, s7
	s_delay_alu instid0(VALU_DEP_1)
	v_mov_b32_e32 v9, v7
.LBB1_82:
	s_or_b32 exec_lo, exec_lo, s6
	s_wait_dscnt 0x0
	s_delay_alu instid0(VALU_DEP_3) | instskip(NEXT) | instid1(VALU_DEP_2)
	v_mov_b64_e32 v[2:3], v[4:5]
	v_and_b32_e32 v8, 0xff, v9
	v_dual_mov_b32 v10, v4 :: v_dual_mov_b32 v11, v5
.LBB1_83:
	s_or_b32 exec_lo, exec_lo, s5
	v_cmp_gt_u32_e32 vcc_lo, 28, v1
	v_add_nc_u32_e32 v9, 4, v1
	s_mov_b32 s5, exec_lo
	s_wait_dscnt 0x1
	v_cndmask_b32_e64 v4, 0, 4, vcc_lo
	s_wait_dscnt 0x0
	s_delay_alu instid0(VALU_DEP_1)
	v_add_lshl_u32 v5, v4, v1, 2
	ds_bpermute_b32 v7, v5, v8
	ds_bpermute_b32 v4, v5, v10
	;; [unrolled: 1-line block ×3, first 2 shown]
	v_cmpx_lt_u32_e64 v9, v6
	s_cbranch_execz .LBB1_91
; %bb.84:
	s_wait_dscnt 0x2
	v_and_b32_e32 v9, v8, v7
	s_mov_b32 s6, exec_lo
	s_delay_alu instid0(VALU_DEP_1) | instskip(NEXT) | instid1(VALU_DEP_1)
	v_and_b32_e32 v9, 1, v9
	v_cmpx_eq_u32_e32 1, v9
	s_xor_b32 s6, exec_lo, s6
	s_cbranch_execz .LBB1_86
; %bb.85:
	s_wait_dscnt 0x0
	v_cmp_lt_f32_e32 vcc_lo, v3, v5
                                        ; implicit-def: $vgpr7
                                        ; implicit-def: $vgpr8
	v_cndmask_b32_e32 v5, v3, v5, vcc_lo
	v_cmp_gt_f32_e32 vcc_lo, v2, v4
	v_cndmask_b32_e32 v4, v2, v4, vcc_lo
                                        ; implicit-def: $vgpr2_vgpr3
.LBB1_86:
	s_or_saveexec_b32 s6, s6
	v_mov_b32_e32 v9, 1
	s_xor_b32 exec_lo, exec_lo, s6
	s_cbranch_execz .LBB1_90
; %bb.87:
	v_and_b32_e32 v8, 1, v8
	s_mov_b32 s7, exec_lo
	s_delay_alu instid0(VALU_DEP_1)
	v_cmpx_eq_u32_e32 1, v8
	s_cbranch_execz .LBB1_89
; %bb.88:
	s_wait_dscnt 0x0
	v_mov_b64_e32 v[4:5], v[2:3]
	v_mov_b32_e32 v7, 1
.LBB1_89:
	s_or_b32 exec_lo, exec_lo, s7
	s_delay_alu instid0(VALU_DEP_1)
	v_mov_b32_e32 v9, v7
.LBB1_90:
	s_or_b32 exec_lo, exec_lo, s6
	s_wait_dscnt 0x0
	s_delay_alu instid0(VALU_DEP_3) | instskip(NEXT) | instid1(VALU_DEP_2)
	v_mov_b64_e32 v[2:3], v[4:5]
	v_and_b32_e32 v8, 0xff, v9
	v_dual_mov_b32 v10, v4 :: v_dual_mov_b32 v11, v5
.LBB1_91:
	s_or_b32 exec_lo, exec_lo, s5
	v_cmp_gt_u32_e32 vcc_lo, 24, v1
	v_add_nc_u32_e32 v9, 8, v1
	s_mov_b32 s5, exec_lo
	s_wait_dscnt 0x1
	v_cndmask_b32_e64 v4, 0, 8, vcc_lo
	s_wait_dscnt 0x0
	s_delay_alu instid0(VALU_DEP_1)
	v_add_lshl_u32 v5, v4, v1, 2
	ds_bpermute_b32 v7, v5, v8
	ds_bpermute_b32 v4, v5, v10
	;; [unrolled: 1-line block ×3, first 2 shown]
	v_cmpx_lt_u32_e64 v9, v6
	s_cbranch_execz .LBB1_99
; %bb.92:
	s_wait_dscnt 0x2
	v_and_b32_e32 v9, v8, v7
	s_mov_b32 s6, exec_lo
	s_delay_alu instid0(VALU_DEP_1) | instskip(NEXT) | instid1(VALU_DEP_1)
	v_and_b32_e32 v9, 1, v9
	v_cmpx_eq_u32_e32 1, v9
	s_xor_b32 s6, exec_lo, s6
	s_cbranch_execz .LBB1_94
; %bb.93:
	s_wait_dscnt 0x0
	v_cmp_gt_f32_e32 vcc_lo, v5, v3
                                        ; implicit-def: $vgpr7
                                        ; implicit-def: $vgpr8
	v_cndmask_b32_e32 v5, v3, v5, vcc_lo
	v_cmp_gt_f32_e32 vcc_lo, v2, v4
	v_cndmask_b32_e32 v4, v2, v4, vcc_lo
                                        ; implicit-def: $vgpr2_vgpr3
.LBB1_94:
	s_or_saveexec_b32 s6, s6
	v_mov_b32_e32 v9, 1
	s_xor_b32 exec_lo, exec_lo, s6
	s_cbranch_execz .LBB1_98
; %bb.95:
	v_and_b32_e32 v8, 1, v8
	s_mov_b32 s7, exec_lo
	s_delay_alu instid0(VALU_DEP_1)
	v_cmpx_eq_u32_e32 1, v8
	s_cbranch_execz .LBB1_97
; %bb.96:
	s_wait_dscnt 0x0
	v_mov_b64_e32 v[4:5], v[2:3]
	v_mov_b32_e32 v7, 1
.LBB1_97:
	s_or_b32 exec_lo, exec_lo, s7
	s_delay_alu instid0(VALU_DEP_1)
	v_mov_b32_e32 v9, v7
.LBB1_98:
	s_or_b32 exec_lo, exec_lo, s6
	s_wait_dscnt 0x0
	s_delay_alu instid0(VALU_DEP_3) | instskip(NEXT) | instid1(VALU_DEP_2)
	v_mov_b64_e32 v[2:3], v[4:5]
	v_and_b32_e32 v8, 0xff, v9
	v_dual_mov_b32 v10, v4 :: v_dual_mov_b32 v11, v5
.LBB1_99:
	s_or_b32 exec_lo, exec_lo, s5
	s_wait_dscnt 0x2
	v_lshlrev_b32_e32 v7, 2, v1
	s_wait_dscnt 0x0
	s_delay_alu instid0(VALU_DEP_1) | instskip(SKIP_2) | instid1(VALU_DEP_1)
	v_or_b32_e32 v5, 64, v7
	ds_bpermute_b32 v4, v5, v10
	v_add_nc_u32_e32 v10, 16, v1
	v_cmp_lt_u32_e32 vcc_lo, v10, v6
	v_mov_b32_e32 v6, v8
	ds_bpermute_b32 v9, v5, v8
	ds_bpermute_b32 v5, v5, v11
	s_and_saveexec_b32 s5, vcc_lo
	s_cbranch_execz .LBB1_107
; %bb.100:
	s_wait_dscnt 0x1
	v_and_b32_e32 v6, v8, v9
	s_mov_b32 s6, exec_lo
	s_delay_alu instid0(VALU_DEP_1) | instskip(NEXT) | instid1(VALU_DEP_1)
	v_and_b32_e32 v6, 1, v6
	v_cmpx_eq_u32_e32 1, v6
	s_xor_b32 s6, exec_lo, s6
	s_cbranch_execz .LBB1_102
; %bb.101:
	s_wait_dscnt 0x0
	v_cmp_gt_f32_e32 vcc_lo, v5, v3
                                        ; implicit-def: $vgpr9
                                        ; implicit-def: $vgpr8
	v_cndmask_b32_e32 v5, v3, v5, vcc_lo
	v_cmp_gt_f32_e32 vcc_lo, v2, v4
	v_cndmask_b32_e32 v4, v2, v4, vcc_lo
                                        ; implicit-def: $vgpr2_vgpr3
.LBB1_102:
	s_or_saveexec_b32 s6, s6
	v_mov_b32_e32 v6, 1
	s_xor_b32 exec_lo, exec_lo, s6
	s_cbranch_execz .LBB1_106
; %bb.103:
	v_and_b32_e32 v6, 1, v8
	s_mov_b32 s7, exec_lo
	s_delay_alu instid0(VALU_DEP_1)
	v_cmpx_eq_u32_e32 1, v6
	s_cbranch_execz .LBB1_105
; %bb.104:
	s_wait_dscnt 0x0
	v_mov_b64_e32 v[4:5], v[2:3]
	v_mov_b32_e32 v9, 1
.LBB1_105:
	s_or_b32 exec_lo, exec_lo, s7
	s_delay_alu instid0(VALU_DEP_1)
	v_mov_b32_e32 v6, v9
.LBB1_106:
	s_or_b32 exec_lo, exec_lo, s6
	s_wait_dscnt 0x0
	s_delay_alu instid0(VALU_DEP_3) | instskip(NEXT) | instid1(VALU_DEP_2)
	v_mov_b64_e32 v[2:3], v[4:5]
	v_and_b32_e32 v8, 0xff, v6
.LBB1_107:
	s_or_b32 exec_lo, exec_lo, s5
	s_delay_alu instid0(SALU_CYCLE_1)
	s_mov_b32 s5, exec_lo
	v_cmpx_eq_u32_e32 0, v1
	s_cbranch_execz .LBB1_109
; %bb.108:
	s_wait_dscnt 0x2
	v_lshrrev_b32_e32 v4, 5, v0
	s_delay_alu instid0(VALU_DEP_1)
	v_mul_u32_u24_e32 v4, 12, v4
	ds_store_b8 v4, v6
	ds_store_2addr_b32 v4, v2, v3 offset0:1 offset1:2
.LBB1_109:
	s_or_b32 exec_lo, exec_lo, s5
	s_delay_alu instid0(SALU_CYCLE_1)
	s_mov_b32 s5, exec_lo
	s_wait_dscnt 0x0
	s_barrier_signal -1
	s_barrier_wait -1
	v_cmpx_gt_u32_e32 4, v0
	s_cbranch_execz .LBB1_127
; %bb.110:
	v_mul_u32_u24_e32 v2, 12, v1
	v_and_b32_e32 v6, 3, v1
	s_add_co_i32 s4, s4, 31
	ds_load_u8 v9, v2
	ds_load_2addr_b32 v[2:3], v2 offset0:1 offset1:2
	v_cmp_ne_u32_e32 vcc_lo, 3, v6
	s_lshr_b32 s4, s4, 5
	v_add_co_ci_u32_e64 v1, null, 0, v1, vcc_lo
	s_delay_alu instid0(VALU_DEP_1)
	v_dual_lshlrev_b32 v5, 2, v1 :: v_dual_add_nc_u32 v10, 1, v6
	s_wait_dscnt 0x1
	v_and_b32_e32 v8, 0xff, v9
	s_wait_dscnt 0x0
	ds_bpermute_b32 v4, v5, v2
	v_mov_b32_e32 v11, v3
	v_cmp_gt_u32_e32 vcc_lo, s4, v10
	v_mov_b32_e32 v10, v2
	ds_bpermute_b32 v1, v5, v8
	ds_bpermute_b32 v5, v5, v3
	s_and_saveexec_b32 s6, vcc_lo
	s_cbranch_execz .LBB1_118
; %bb.111:
	s_wait_dscnt 0x1
	v_and_b32_e32 v8, v8, v1
	s_mov_b32 s7, exec_lo
	s_delay_alu instid0(VALU_DEP_1) | instskip(NEXT) | instid1(VALU_DEP_1)
	v_and_b32_e32 v8, 1, v8
	v_cmpx_eq_u32_e32 1, v8
	s_xor_b32 s7, exec_lo, s7
	s_cbranch_execz .LBB1_113
; %bb.112:
	s_wait_dscnt 0x0
	v_cmp_gt_f32_e32 vcc_lo, v5, v3
                                        ; implicit-def: $vgpr1
                                        ; implicit-def: $vgpr9
	v_cndmask_b32_e32 v5, v3, v5, vcc_lo
	v_cmp_gt_f32_e32 vcc_lo, v2, v4
	v_cndmask_b32_e32 v4, v2, v4, vcc_lo
                                        ; implicit-def: $vgpr2_vgpr3
.LBB1_113:
	s_or_saveexec_b32 s7, s7
	v_mov_b32_e32 v8, 1
	s_xor_b32 exec_lo, exec_lo, s7
	s_cbranch_execz .LBB1_117
; %bb.114:
	v_and_b32_e32 v8, 1, v9
	s_mov_b32 s18, exec_lo
	s_delay_alu instid0(VALU_DEP_1)
	v_cmpx_eq_u32_e32 1, v8
	s_cbranch_execz .LBB1_116
; %bb.115:
	s_wait_dscnt 0x0
	v_mov_b64_e32 v[4:5], v[2:3]
	v_mov_b32_e32 v1, 1
.LBB1_116:
	s_or_b32 exec_lo, exec_lo, s18
	s_delay_alu instid0(VALU_DEP_1)
	v_mov_b32_e32 v8, v1
.LBB1_117:
	s_or_b32 exec_lo, exec_lo, s7
	s_wait_dscnt 0x0
	s_delay_alu instid0(VALU_DEP_3) | instskip(NEXT) | instid1(VALU_DEP_2)
	v_mov_b64_e32 v[2:3], v[4:5]
	v_and_b32_e32 v8, 0xff, v8
	v_dual_mov_b32 v10, v4 :: v_dual_mov_b32 v11, v5
.LBB1_118:
	s_or_b32 exec_lo, exec_lo, s6
	s_wait_dscnt 0x0
	v_dual_add_nc_u32 v6, 2, v6 :: v_dual_bitop2_b32 v5, 8, v7 bitop3:0x54
	ds_bpermute_b32 v1, v5, v8
	ds_bpermute_b32 v4, v5, v10
	;; [unrolled: 1-line block ×3, first 2 shown]
	v_cmp_gt_u32_e32 vcc_lo, s4, v6
	s_and_saveexec_b32 s4, vcc_lo
	s_cbranch_execz .LBB1_126
; %bb.119:
	s_wait_dscnt 0x2
	v_and_b32_e32 v6, v8, v1
	s_mov_b32 s6, exec_lo
	s_delay_alu instid0(VALU_DEP_1) | instskip(NEXT) | instid1(VALU_DEP_1)
	v_and_b32_e32 v6, 1, v6
	v_cmpx_eq_u32_e32 1, v6
	s_xor_b32 s6, exec_lo, s6
	s_cbranch_execz .LBB1_121
; %bb.120:
	s_wait_dscnt 0x0
	v_cmp_gt_f32_e32 vcc_lo, v5, v3
                                        ; implicit-def: $vgpr1
                                        ; implicit-def: $vgpr8
	v_cndmask_b32_e32 v5, v3, v5, vcc_lo
	v_cmp_gt_f32_e32 vcc_lo, v2, v4
	v_cndmask_b32_e32 v4, v2, v4, vcc_lo
                                        ; implicit-def: $vgpr2_vgpr3
.LBB1_121:
	s_or_saveexec_b32 s6, s6
	v_mov_b32_e32 v6, 1
	s_xor_b32 exec_lo, exec_lo, s6
	s_cbranch_execz .LBB1_125
; %bb.122:
	v_and_b32_e32 v6, 1, v8
	s_mov_b32 s7, exec_lo
	s_delay_alu instid0(VALU_DEP_1)
	v_cmpx_eq_u32_e32 1, v6
	s_cbranch_execz .LBB1_124
; %bb.123:
	s_wait_dscnt 0x0
	v_mov_b64_e32 v[4:5], v[2:3]
	v_mov_b32_e32 v1, 1
.LBB1_124:
	s_or_b32 exec_lo, exec_lo, s7
	s_delay_alu instid0(VALU_DEP_1)
	v_mov_b32_e32 v6, v1
.LBB1_125:
	s_or_b32 exec_lo, exec_lo, s6
	s_wait_dscnt 0x0
	s_delay_alu instid0(VALU_DEP_3) | instskip(NEXT) | instid1(VALU_DEP_2)
	v_mov_b64_e32 v[2:3], v[4:5]
	v_mov_b32_e32 v8, v6
.LBB1_126:
	s_or_b32 exec_lo, exec_lo, s4
.LBB1_127:
	s_delay_alu instid0(SALU_CYCLE_1)
	s_or_b32 exec_lo, exec_lo, s5
.LBB1_128:
	s_wait_xcnt 0x0
	s_load_b32 s0, s[0:1], 0x30
	s_wait_xcnt 0x0
	s_mov_b32 s1, exec_lo
	v_cmpx_eq_u32_e32 0, v0
	s_cbranch_execz .LBB1_130
; %bb.129:
	s_cmp_eq_u64 s[8:9], 0
	s_mul_u64 s[4:5], s[14:15], s[12:13]
	s_cselect_b32 s6, -1, 0
	s_mul_u64 s[4:5], s[4:5], 12
	s_wait_dscnt 0x1
	s_wait_kmcnt 0x0
	v_cndmask_b32_e64 v4, v8, s0, s6
	s_wait_dscnt 0x0
	v_mov_b32_e32 v5, 0
	s_add_nc_u64 s[4:5], s[10:11], s[4:5]
	s_mul_u64 s[0:1], s[16:17], 12
	v_cndmask_b32_e64 v1, v3, s3, s6
	v_cndmask_b32_e64 v0, v2, s2, s6
	s_add_nc_u64 s[0:1], s[4:5], s[0:1]
	s_clause 0x1
	global_store_b8 v5, v4, s[0:1]
	global_store_b64 v5, v[0:1], s[0:1] offset:4
.LBB1_130:
	s_endpgm
	.section	.rodata,"a",@progbits
	.p2align	6, 0x0
	.amdhsa_kernel _ZN7rocprim17ROCPRIM_400000_NS6detail17trampoline_kernelINS0_14default_configENS1_22reduce_config_selectorIN6thrust23THRUST_200600_302600_NS5tupleIbffNS6_9null_typeES8_S8_S8_S8_S8_S8_EEEEZNS1_11reduce_implILb1ES3_PS9_SC_S9_12reduce_tupleIifEEE10hipError_tPvRmT1_T2_T3_mT4_P12ihipStream_tbEUlT_E0_NS1_11comp_targetILNS1_3genE0ELNS1_11target_archE4294967295ELNS1_3gpuE0ELNS1_3repE0EEENS1_30default_config_static_selectorELNS0_4arch9wavefront6targetE0EEEvSI_
		.amdhsa_group_segment_fixed_size 96
		.amdhsa_private_segment_fixed_size 0
		.amdhsa_kernarg_size 64
		.amdhsa_user_sgpr_count 2
		.amdhsa_user_sgpr_dispatch_ptr 0
		.amdhsa_user_sgpr_queue_ptr 0
		.amdhsa_user_sgpr_kernarg_segment_ptr 1
		.amdhsa_user_sgpr_dispatch_id 0
		.amdhsa_user_sgpr_kernarg_preload_length 0
		.amdhsa_user_sgpr_kernarg_preload_offset 0
		.amdhsa_user_sgpr_private_segment_size 0
		.amdhsa_wavefront_size32 1
		.amdhsa_uses_dynamic_stack 0
		.amdhsa_enable_private_segment 0
		.amdhsa_system_sgpr_workgroup_id_x 1
		.amdhsa_system_sgpr_workgroup_id_y 0
		.amdhsa_system_sgpr_workgroup_id_z 0
		.amdhsa_system_sgpr_workgroup_info 0
		.amdhsa_system_vgpr_workitem_id 0
		.amdhsa_next_free_vgpr 12
		.amdhsa_next_free_sgpr 20
		.amdhsa_named_barrier_count 0
		.amdhsa_reserve_vcc 1
		.amdhsa_float_round_mode_32 0
		.amdhsa_float_round_mode_16_64 0
		.amdhsa_float_denorm_mode_32 3
		.amdhsa_float_denorm_mode_16_64 3
		.amdhsa_fp16_overflow 0
		.amdhsa_memory_ordered 1
		.amdhsa_forward_progress 1
		.amdhsa_inst_pref_size 29
		.amdhsa_round_robin_scheduling 0
		.amdhsa_exception_fp_ieee_invalid_op 0
		.amdhsa_exception_fp_denorm_src 0
		.amdhsa_exception_fp_ieee_div_zero 0
		.amdhsa_exception_fp_ieee_overflow 0
		.amdhsa_exception_fp_ieee_underflow 0
		.amdhsa_exception_fp_ieee_inexact 0
		.amdhsa_exception_int_div_zero 0
	.end_amdhsa_kernel
	.section	.text._ZN7rocprim17ROCPRIM_400000_NS6detail17trampoline_kernelINS0_14default_configENS1_22reduce_config_selectorIN6thrust23THRUST_200600_302600_NS5tupleIbffNS6_9null_typeES8_S8_S8_S8_S8_S8_EEEEZNS1_11reduce_implILb1ES3_PS9_SC_S9_12reduce_tupleIifEEE10hipError_tPvRmT1_T2_T3_mT4_P12ihipStream_tbEUlT_E0_NS1_11comp_targetILNS1_3genE0ELNS1_11target_archE4294967295ELNS1_3gpuE0ELNS1_3repE0EEENS1_30default_config_static_selectorELNS0_4arch9wavefront6targetE0EEEvSI_,"axG",@progbits,_ZN7rocprim17ROCPRIM_400000_NS6detail17trampoline_kernelINS0_14default_configENS1_22reduce_config_selectorIN6thrust23THRUST_200600_302600_NS5tupleIbffNS6_9null_typeES8_S8_S8_S8_S8_S8_EEEEZNS1_11reduce_implILb1ES3_PS9_SC_S9_12reduce_tupleIifEEE10hipError_tPvRmT1_T2_T3_mT4_P12ihipStream_tbEUlT_E0_NS1_11comp_targetILNS1_3genE0ELNS1_11target_archE4294967295ELNS1_3gpuE0ELNS1_3repE0EEENS1_30default_config_static_selectorELNS0_4arch9wavefront6targetE0EEEvSI_,comdat
.Lfunc_end1:
	.size	_ZN7rocprim17ROCPRIM_400000_NS6detail17trampoline_kernelINS0_14default_configENS1_22reduce_config_selectorIN6thrust23THRUST_200600_302600_NS5tupleIbffNS6_9null_typeES8_S8_S8_S8_S8_S8_EEEEZNS1_11reduce_implILb1ES3_PS9_SC_S9_12reduce_tupleIifEEE10hipError_tPvRmT1_T2_T3_mT4_P12ihipStream_tbEUlT_E0_NS1_11comp_targetILNS1_3genE0ELNS1_11target_archE4294967295ELNS1_3gpuE0ELNS1_3repE0EEENS1_30default_config_static_selectorELNS0_4arch9wavefront6targetE0EEEvSI_, .Lfunc_end1-_ZN7rocprim17ROCPRIM_400000_NS6detail17trampoline_kernelINS0_14default_configENS1_22reduce_config_selectorIN6thrust23THRUST_200600_302600_NS5tupleIbffNS6_9null_typeES8_S8_S8_S8_S8_S8_EEEEZNS1_11reduce_implILb1ES3_PS9_SC_S9_12reduce_tupleIifEEE10hipError_tPvRmT1_T2_T3_mT4_P12ihipStream_tbEUlT_E0_NS1_11comp_targetILNS1_3genE0ELNS1_11target_archE4294967295ELNS1_3gpuE0ELNS1_3repE0EEENS1_30default_config_static_selectorELNS0_4arch9wavefront6targetE0EEEvSI_
                                        ; -- End function
	.set _ZN7rocprim17ROCPRIM_400000_NS6detail17trampoline_kernelINS0_14default_configENS1_22reduce_config_selectorIN6thrust23THRUST_200600_302600_NS5tupleIbffNS6_9null_typeES8_S8_S8_S8_S8_S8_EEEEZNS1_11reduce_implILb1ES3_PS9_SC_S9_12reduce_tupleIifEEE10hipError_tPvRmT1_T2_T3_mT4_P12ihipStream_tbEUlT_E0_NS1_11comp_targetILNS1_3genE0ELNS1_11target_archE4294967295ELNS1_3gpuE0ELNS1_3repE0EEENS1_30default_config_static_selectorELNS0_4arch9wavefront6targetE0EEEvSI_.num_vgpr, 12
	.set _ZN7rocprim17ROCPRIM_400000_NS6detail17trampoline_kernelINS0_14default_configENS1_22reduce_config_selectorIN6thrust23THRUST_200600_302600_NS5tupleIbffNS6_9null_typeES8_S8_S8_S8_S8_S8_EEEEZNS1_11reduce_implILb1ES3_PS9_SC_S9_12reduce_tupleIifEEE10hipError_tPvRmT1_T2_T3_mT4_P12ihipStream_tbEUlT_E0_NS1_11comp_targetILNS1_3genE0ELNS1_11target_archE4294967295ELNS1_3gpuE0ELNS1_3repE0EEENS1_30default_config_static_selectorELNS0_4arch9wavefront6targetE0EEEvSI_.num_agpr, 0
	.set _ZN7rocprim17ROCPRIM_400000_NS6detail17trampoline_kernelINS0_14default_configENS1_22reduce_config_selectorIN6thrust23THRUST_200600_302600_NS5tupleIbffNS6_9null_typeES8_S8_S8_S8_S8_S8_EEEEZNS1_11reduce_implILb1ES3_PS9_SC_S9_12reduce_tupleIifEEE10hipError_tPvRmT1_T2_T3_mT4_P12ihipStream_tbEUlT_E0_NS1_11comp_targetILNS1_3genE0ELNS1_11target_archE4294967295ELNS1_3gpuE0ELNS1_3repE0EEENS1_30default_config_static_selectorELNS0_4arch9wavefront6targetE0EEEvSI_.numbered_sgpr, 20
	.set _ZN7rocprim17ROCPRIM_400000_NS6detail17trampoline_kernelINS0_14default_configENS1_22reduce_config_selectorIN6thrust23THRUST_200600_302600_NS5tupleIbffNS6_9null_typeES8_S8_S8_S8_S8_S8_EEEEZNS1_11reduce_implILb1ES3_PS9_SC_S9_12reduce_tupleIifEEE10hipError_tPvRmT1_T2_T3_mT4_P12ihipStream_tbEUlT_E0_NS1_11comp_targetILNS1_3genE0ELNS1_11target_archE4294967295ELNS1_3gpuE0ELNS1_3repE0EEENS1_30default_config_static_selectorELNS0_4arch9wavefront6targetE0EEEvSI_.num_named_barrier, 0
	.set _ZN7rocprim17ROCPRIM_400000_NS6detail17trampoline_kernelINS0_14default_configENS1_22reduce_config_selectorIN6thrust23THRUST_200600_302600_NS5tupleIbffNS6_9null_typeES8_S8_S8_S8_S8_S8_EEEEZNS1_11reduce_implILb1ES3_PS9_SC_S9_12reduce_tupleIifEEE10hipError_tPvRmT1_T2_T3_mT4_P12ihipStream_tbEUlT_E0_NS1_11comp_targetILNS1_3genE0ELNS1_11target_archE4294967295ELNS1_3gpuE0ELNS1_3repE0EEENS1_30default_config_static_selectorELNS0_4arch9wavefront6targetE0EEEvSI_.private_seg_size, 0
	.set _ZN7rocprim17ROCPRIM_400000_NS6detail17trampoline_kernelINS0_14default_configENS1_22reduce_config_selectorIN6thrust23THRUST_200600_302600_NS5tupleIbffNS6_9null_typeES8_S8_S8_S8_S8_S8_EEEEZNS1_11reduce_implILb1ES3_PS9_SC_S9_12reduce_tupleIifEEE10hipError_tPvRmT1_T2_T3_mT4_P12ihipStream_tbEUlT_E0_NS1_11comp_targetILNS1_3genE0ELNS1_11target_archE4294967295ELNS1_3gpuE0ELNS1_3repE0EEENS1_30default_config_static_selectorELNS0_4arch9wavefront6targetE0EEEvSI_.uses_vcc, 1
	.set _ZN7rocprim17ROCPRIM_400000_NS6detail17trampoline_kernelINS0_14default_configENS1_22reduce_config_selectorIN6thrust23THRUST_200600_302600_NS5tupleIbffNS6_9null_typeES8_S8_S8_S8_S8_S8_EEEEZNS1_11reduce_implILb1ES3_PS9_SC_S9_12reduce_tupleIifEEE10hipError_tPvRmT1_T2_T3_mT4_P12ihipStream_tbEUlT_E0_NS1_11comp_targetILNS1_3genE0ELNS1_11target_archE4294967295ELNS1_3gpuE0ELNS1_3repE0EEENS1_30default_config_static_selectorELNS0_4arch9wavefront6targetE0EEEvSI_.uses_flat_scratch, 0
	.set _ZN7rocprim17ROCPRIM_400000_NS6detail17trampoline_kernelINS0_14default_configENS1_22reduce_config_selectorIN6thrust23THRUST_200600_302600_NS5tupleIbffNS6_9null_typeES8_S8_S8_S8_S8_S8_EEEEZNS1_11reduce_implILb1ES3_PS9_SC_S9_12reduce_tupleIifEEE10hipError_tPvRmT1_T2_T3_mT4_P12ihipStream_tbEUlT_E0_NS1_11comp_targetILNS1_3genE0ELNS1_11target_archE4294967295ELNS1_3gpuE0ELNS1_3repE0EEENS1_30default_config_static_selectorELNS0_4arch9wavefront6targetE0EEEvSI_.has_dyn_sized_stack, 0
	.set _ZN7rocprim17ROCPRIM_400000_NS6detail17trampoline_kernelINS0_14default_configENS1_22reduce_config_selectorIN6thrust23THRUST_200600_302600_NS5tupleIbffNS6_9null_typeES8_S8_S8_S8_S8_S8_EEEEZNS1_11reduce_implILb1ES3_PS9_SC_S9_12reduce_tupleIifEEE10hipError_tPvRmT1_T2_T3_mT4_P12ihipStream_tbEUlT_E0_NS1_11comp_targetILNS1_3genE0ELNS1_11target_archE4294967295ELNS1_3gpuE0ELNS1_3repE0EEENS1_30default_config_static_selectorELNS0_4arch9wavefront6targetE0EEEvSI_.has_recursion, 0
	.set _ZN7rocprim17ROCPRIM_400000_NS6detail17trampoline_kernelINS0_14default_configENS1_22reduce_config_selectorIN6thrust23THRUST_200600_302600_NS5tupleIbffNS6_9null_typeES8_S8_S8_S8_S8_S8_EEEEZNS1_11reduce_implILb1ES3_PS9_SC_S9_12reduce_tupleIifEEE10hipError_tPvRmT1_T2_T3_mT4_P12ihipStream_tbEUlT_E0_NS1_11comp_targetILNS1_3genE0ELNS1_11target_archE4294967295ELNS1_3gpuE0ELNS1_3repE0EEENS1_30default_config_static_selectorELNS0_4arch9wavefront6targetE0EEEvSI_.has_indirect_call, 0
	.section	.AMDGPU.csdata,"",@progbits
; Kernel info:
; codeLenInByte = 3596
; TotalNumSgprs: 22
; NumVgprs: 12
; ScratchSize: 0
; MemoryBound: 0
; FloatMode: 240
; IeeeMode: 1
; LDSByteSize: 96 bytes/workgroup (compile time only)
; SGPRBlocks: 0
; VGPRBlocks: 0
; NumSGPRsForWavesPerEU: 22
; NumVGPRsForWavesPerEU: 12
; NamedBarCnt: 0
; Occupancy: 16
; WaveLimiterHint : 1
; COMPUTE_PGM_RSRC2:SCRATCH_EN: 0
; COMPUTE_PGM_RSRC2:USER_SGPR: 2
; COMPUTE_PGM_RSRC2:TRAP_HANDLER: 0
; COMPUTE_PGM_RSRC2:TGID_X_EN: 1
; COMPUTE_PGM_RSRC2:TGID_Y_EN: 0
; COMPUTE_PGM_RSRC2:TGID_Z_EN: 0
; COMPUTE_PGM_RSRC2:TIDIG_COMP_CNT: 0
	.section	.text._ZN7rocprim17ROCPRIM_400000_NS6detail17trampoline_kernelINS0_14default_configENS1_22reduce_config_selectorIN6thrust23THRUST_200600_302600_NS5tupleIbffNS6_9null_typeES8_S8_S8_S8_S8_S8_EEEEZNS1_11reduce_implILb1ES3_PS9_SC_S9_12reduce_tupleIifEEE10hipError_tPvRmT1_T2_T3_mT4_P12ihipStream_tbEUlT_E0_NS1_11comp_targetILNS1_3genE5ELNS1_11target_archE942ELNS1_3gpuE9ELNS1_3repE0EEENS1_30default_config_static_selectorELNS0_4arch9wavefront6targetE0EEEvSI_,"axG",@progbits,_ZN7rocprim17ROCPRIM_400000_NS6detail17trampoline_kernelINS0_14default_configENS1_22reduce_config_selectorIN6thrust23THRUST_200600_302600_NS5tupleIbffNS6_9null_typeES8_S8_S8_S8_S8_S8_EEEEZNS1_11reduce_implILb1ES3_PS9_SC_S9_12reduce_tupleIifEEE10hipError_tPvRmT1_T2_T3_mT4_P12ihipStream_tbEUlT_E0_NS1_11comp_targetILNS1_3genE5ELNS1_11target_archE942ELNS1_3gpuE9ELNS1_3repE0EEENS1_30default_config_static_selectorELNS0_4arch9wavefront6targetE0EEEvSI_,comdat
	.protected	_ZN7rocprim17ROCPRIM_400000_NS6detail17trampoline_kernelINS0_14default_configENS1_22reduce_config_selectorIN6thrust23THRUST_200600_302600_NS5tupleIbffNS6_9null_typeES8_S8_S8_S8_S8_S8_EEEEZNS1_11reduce_implILb1ES3_PS9_SC_S9_12reduce_tupleIifEEE10hipError_tPvRmT1_T2_T3_mT4_P12ihipStream_tbEUlT_E0_NS1_11comp_targetILNS1_3genE5ELNS1_11target_archE942ELNS1_3gpuE9ELNS1_3repE0EEENS1_30default_config_static_selectorELNS0_4arch9wavefront6targetE0EEEvSI_ ; -- Begin function _ZN7rocprim17ROCPRIM_400000_NS6detail17trampoline_kernelINS0_14default_configENS1_22reduce_config_selectorIN6thrust23THRUST_200600_302600_NS5tupleIbffNS6_9null_typeES8_S8_S8_S8_S8_S8_EEEEZNS1_11reduce_implILb1ES3_PS9_SC_S9_12reduce_tupleIifEEE10hipError_tPvRmT1_T2_T3_mT4_P12ihipStream_tbEUlT_E0_NS1_11comp_targetILNS1_3genE5ELNS1_11target_archE942ELNS1_3gpuE9ELNS1_3repE0EEENS1_30default_config_static_selectorELNS0_4arch9wavefront6targetE0EEEvSI_
	.globl	_ZN7rocprim17ROCPRIM_400000_NS6detail17trampoline_kernelINS0_14default_configENS1_22reduce_config_selectorIN6thrust23THRUST_200600_302600_NS5tupleIbffNS6_9null_typeES8_S8_S8_S8_S8_S8_EEEEZNS1_11reduce_implILb1ES3_PS9_SC_S9_12reduce_tupleIifEEE10hipError_tPvRmT1_T2_T3_mT4_P12ihipStream_tbEUlT_E0_NS1_11comp_targetILNS1_3genE5ELNS1_11target_archE942ELNS1_3gpuE9ELNS1_3repE0EEENS1_30default_config_static_selectorELNS0_4arch9wavefront6targetE0EEEvSI_
	.p2align	8
	.type	_ZN7rocprim17ROCPRIM_400000_NS6detail17trampoline_kernelINS0_14default_configENS1_22reduce_config_selectorIN6thrust23THRUST_200600_302600_NS5tupleIbffNS6_9null_typeES8_S8_S8_S8_S8_S8_EEEEZNS1_11reduce_implILb1ES3_PS9_SC_S9_12reduce_tupleIifEEE10hipError_tPvRmT1_T2_T3_mT4_P12ihipStream_tbEUlT_E0_NS1_11comp_targetILNS1_3genE5ELNS1_11target_archE942ELNS1_3gpuE9ELNS1_3repE0EEENS1_30default_config_static_selectorELNS0_4arch9wavefront6targetE0EEEvSI_,@function
_ZN7rocprim17ROCPRIM_400000_NS6detail17trampoline_kernelINS0_14default_configENS1_22reduce_config_selectorIN6thrust23THRUST_200600_302600_NS5tupleIbffNS6_9null_typeES8_S8_S8_S8_S8_S8_EEEEZNS1_11reduce_implILb1ES3_PS9_SC_S9_12reduce_tupleIifEEE10hipError_tPvRmT1_T2_T3_mT4_P12ihipStream_tbEUlT_E0_NS1_11comp_targetILNS1_3genE5ELNS1_11target_archE942ELNS1_3gpuE9ELNS1_3repE0EEENS1_30default_config_static_selectorELNS0_4arch9wavefront6targetE0EEEvSI_: ; @_ZN7rocprim17ROCPRIM_400000_NS6detail17trampoline_kernelINS0_14default_configENS1_22reduce_config_selectorIN6thrust23THRUST_200600_302600_NS5tupleIbffNS6_9null_typeES8_S8_S8_S8_S8_S8_EEEEZNS1_11reduce_implILb1ES3_PS9_SC_S9_12reduce_tupleIifEEE10hipError_tPvRmT1_T2_T3_mT4_P12ihipStream_tbEUlT_E0_NS1_11comp_targetILNS1_3genE5ELNS1_11target_archE942ELNS1_3gpuE9ELNS1_3repE0EEENS1_30default_config_static_selectorELNS0_4arch9wavefront6targetE0EEEvSI_
; %bb.0:
	.section	.rodata,"a",@progbits
	.p2align	6, 0x0
	.amdhsa_kernel _ZN7rocprim17ROCPRIM_400000_NS6detail17trampoline_kernelINS0_14default_configENS1_22reduce_config_selectorIN6thrust23THRUST_200600_302600_NS5tupleIbffNS6_9null_typeES8_S8_S8_S8_S8_S8_EEEEZNS1_11reduce_implILb1ES3_PS9_SC_S9_12reduce_tupleIifEEE10hipError_tPvRmT1_T2_T3_mT4_P12ihipStream_tbEUlT_E0_NS1_11comp_targetILNS1_3genE5ELNS1_11target_archE942ELNS1_3gpuE9ELNS1_3repE0EEENS1_30default_config_static_selectorELNS0_4arch9wavefront6targetE0EEEvSI_
		.amdhsa_group_segment_fixed_size 0
		.amdhsa_private_segment_fixed_size 0
		.amdhsa_kernarg_size 64
		.amdhsa_user_sgpr_count 2
		.amdhsa_user_sgpr_dispatch_ptr 0
		.amdhsa_user_sgpr_queue_ptr 0
		.amdhsa_user_sgpr_kernarg_segment_ptr 1
		.amdhsa_user_sgpr_dispatch_id 0
		.amdhsa_user_sgpr_kernarg_preload_length 0
		.amdhsa_user_sgpr_kernarg_preload_offset 0
		.amdhsa_user_sgpr_private_segment_size 0
		.amdhsa_wavefront_size32 1
		.amdhsa_uses_dynamic_stack 0
		.amdhsa_enable_private_segment 0
		.amdhsa_system_sgpr_workgroup_id_x 1
		.amdhsa_system_sgpr_workgroup_id_y 0
		.amdhsa_system_sgpr_workgroup_id_z 0
		.amdhsa_system_sgpr_workgroup_info 0
		.amdhsa_system_vgpr_workitem_id 0
		.amdhsa_next_free_vgpr 1
		.amdhsa_next_free_sgpr 1
		.amdhsa_named_barrier_count 0
		.amdhsa_reserve_vcc 0
		.amdhsa_float_round_mode_32 0
		.amdhsa_float_round_mode_16_64 0
		.amdhsa_float_denorm_mode_32 3
		.amdhsa_float_denorm_mode_16_64 3
		.amdhsa_fp16_overflow 0
		.amdhsa_memory_ordered 1
		.amdhsa_forward_progress 1
		.amdhsa_inst_pref_size 0
		.amdhsa_round_robin_scheduling 0
		.amdhsa_exception_fp_ieee_invalid_op 0
		.amdhsa_exception_fp_denorm_src 0
		.amdhsa_exception_fp_ieee_div_zero 0
		.amdhsa_exception_fp_ieee_overflow 0
		.amdhsa_exception_fp_ieee_underflow 0
		.amdhsa_exception_fp_ieee_inexact 0
		.amdhsa_exception_int_div_zero 0
	.end_amdhsa_kernel
	.section	.text._ZN7rocprim17ROCPRIM_400000_NS6detail17trampoline_kernelINS0_14default_configENS1_22reduce_config_selectorIN6thrust23THRUST_200600_302600_NS5tupleIbffNS6_9null_typeES8_S8_S8_S8_S8_S8_EEEEZNS1_11reduce_implILb1ES3_PS9_SC_S9_12reduce_tupleIifEEE10hipError_tPvRmT1_T2_T3_mT4_P12ihipStream_tbEUlT_E0_NS1_11comp_targetILNS1_3genE5ELNS1_11target_archE942ELNS1_3gpuE9ELNS1_3repE0EEENS1_30default_config_static_selectorELNS0_4arch9wavefront6targetE0EEEvSI_,"axG",@progbits,_ZN7rocprim17ROCPRIM_400000_NS6detail17trampoline_kernelINS0_14default_configENS1_22reduce_config_selectorIN6thrust23THRUST_200600_302600_NS5tupleIbffNS6_9null_typeES8_S8_S8_S8_S8_S8_EEEEZNS1_11reduce_implILb1ES3_PS9_SC_S9_12reduce_tupleIifEEE10hipError_tPvRmT1_T2_T3_mT4_P12ihipStream_tbEUlT_E0_NS1_11comp_targetILNS1_3genE5ELNS1_11target_archE942ELNS1_3gpuE9ELNS1_3repE0EEENS1_30default_config_static_selectorELNS0_4arch9wavefront6targetE0EEEvSI_,comdat
.Lfunc_end2:
	.size	_ZN7rocprim17ROCPRIM_400000_NS6detail17trampoline_kernelINS0_14default_configENS1_22reduce_config_selectorIN6thrust23THRUST_200600_302600_NS5tupleIbffNS6_9null_typeES8_S8_S8_S8_S8_S8_EEEEZNS1_11reduce_implILb1ES3_PS9_SC_S9_12reduce_tupleIifEEE10hipError_tPvRmT1_T2_T3_mT4_P12ihipStream_tbEUlT_E0_NS1_11comp_targetILNS1_3genE5ELNS1_11target_archE942ELNS1_3gpuE9ELNS1_3repE0EEENS1_30default_config_static_selectorELNS0_4arch9wavefront6targetE0EEEvSI_, .Lfunc_end2-_ZN7rocprim17ROCPRIM_400000_NS6detail17trampoline_kernelINS0_14default_configENS1_22reduce_config_selectorIN6thrust23THRUST_200600_302600_NS5tupleIbffNS6_9null_typeES8_S8_S8_S8_S8_S8_EEEEZNS1_11reduce_implILb1ES3_PS9_SC_S9_12reduce_tupleIifEEE10hipError_tPvRmT1_T2_T3_mT4_P12ihipStream_tbEUlT_E0_NS1_11comp_targetILNS1_3genE5ELNS1_11target_archE942ELNS1_3gpuE9ELNS1_3repE0EEENS1_30default_config_static_selectorELNS0_4arch9wavefront6targetE0EEEvSI_
                                        ; -- End function
	.set _ZN7rocprim17ROCPRIM_400000_NS6detail17trampoline_kernelINS0_14default_configENS1_22reduce_config_selectorIN6thrust23THRUST_200600_302600_NS5tupleIbffNS6_9null_typeES8_S8_S8_S8_S8_S8_EEEEZNS1_11reduce_implILb1ES3_PS9_SC_S9_12reduce_tupleIifEEE10hipError_tPvRmT1_T2_T3_mT4_P12ihipStream_tbEUlT_E0_NS1_11comp_targetILNS1_3genE5ELNS1_11target_archE942ELNS1_3gpuE9ELNS1_3repE0EEENS1_30default_config_static_selectorELNS0_4arch9wavefront6targetE0EEEvSI_.num_vgpr, 0
	.set _ZN7rocprim17ROCPRIM_400000_NS6detail17trampoline_kernelINS0_14default_configENS1_22reduce_config_selectorIN6thrust23THRUST_200600_302600_NS5tupleIbffNS6_9null_typeES8_S8_S8_S8_S8_S8_EEEEZNS1_11reduce_implILb1ES3_PS9_SC_S9_12reduce_tupleIifEEE10hipError_tPvRmT1_T2_T3_mT4_P12ihipStream_tbEUlT_E0_NS1_11comp_targetILNS1_3genE5ELNS1_11target_archE942ELNS1_3gpuE9ELNS1_3repE0EEENS1_30default_config_static_selectorELNS0_4arch9wavefront6targetE0EEEvSI_.num_agpr, 0
	.set _ZN7rocprim17ROCPRIM_400000_NS6detail17trampoline_kernelINS0_14default_configENS1_22reduce_config_selectorIN6thrust23THRUST_200600_302600_NS5tupleIbffNS6_9null_typeES8_S8_S8_S8_S8_S8_EEEEZNS1_11reduce_implILb1ES3_PS9_SC_S9_12reduce_tupleIifEEE10hipError_tPvRmT1_T2_T3_mT4_P12ihipStream_tbEUlT_E0_NS1_11comp_targetILNS1_3genE5ELNS1_11target_archE942ELNS1_3gpuE9ELNS1_3repE0EEENS1_30default_config_static_selectorELNS0_4arch9wavefront6targetE0EEEvSI_.numbered_sgpr, 0
	.set _ZN7rocprim17ROCPRIM_400000_NS6detail17trampoline_kernelINS0_14default_configENS1_22reduce_config_selectorIN6thrust23THRUST_200600_302600_NS5tupleIbffNS6_9null_typeES8_S8_S8_S8_S8_S8_EEEEZNS1_11reduce_implILb1ES3_PS9_SC_S9_12reduce_tupleIifEEE10hipError_tPvRmT1_T2_T3_mT4_P12ihipStream_tbEUlT_E0_NS1_11comp_targetILNS1_3genE5ELNS1_11target_archE942ELNS1_3gpuE9ELNS1_3repE0EEENS1_30default_config_static_selectorELNS0_4arch9wavefront6targetE0EEEvSI_.num_named_barrier, 0
	.set _ZN7rocprim17ROCPRIM_400000_NS6detail17trampoline_kernelINS0_14default_configENS1_22reduce_config_selectorIN6thrust23THRUST_200600_302600_NS5tupleIbffNS6_9null_typeES8_S8_S8_S8_S8_S8_EEEEZNS1_11reduce_implILb1ES3_PS9_SC_S9_12reduce_tupleIifEEE10hipError_tPvRmT1_T2_T3_mT4_P12ihipStream_tbEUlT_E0_NS1_11comp_targetILNS1_3genE5ELNS1_11target_archE942ELNS1_3gpuE9ELNS1_3repE0EEENS1_30default_config_static_selectorELNS0_4arch9wavefront6targetE0EEEvSI_.private_seg_size, 0
	.set _ZN7rocprim17ROCPRIM_400000_NS6detail17trampoline_kernelINS0_14default_configENS1_22reduce_config_selectorIN6thrust23THRUST_200600_302600_NS5tupleIbffNS6_9null_typeES8_S8_S8_S8_S8_S8_EEEEZNS1_11reduce_implILb1ES3_PS9_SC_S9_12reduce_tupleIifEEE10hipError_tPvRmT1_T2_T3_mT4_P12ihipStream_tbEUlT_E0_NS1_11comp_targetILNS1_3genE5ELNS1_11target_archE942ELNS1_3gpuE9ELNS1_3repE0EEENS1_30default_config_static_selectorELNS0_4arch9wavefront6targetE0EEEvSI_.uses_vcc, 0
	.set _ZN7rocprim17ROCPRIM_400000_NS6detail17trampoline_kernelINS0_14default_configENS1_22reduce_config_selectorIN6thrust23THRUST_200600_302600_NS5tupleIbffNS6_9null_typeES8_S8_S8_S8_S8_S8_EEEEZNS1_11reduce_implILb1ES3_PS9_SC_S9_12reduce_tupleIifEEE10hipError_tPvRmT1_T2_T3_mT4_P12ihipStream_tbEUlT_E0_NS1_11comp_targetILNS1_3genE5ELNS1_11target_archE942ELNS1_3gpuE9ELNS1_3repE0EEENS1_30default_config_static_selectorELNS0_4arch9wavefront6targetE0EEEvSI_.uses_flat_scratch, 0
	.set _ZN7rocprim17ROCPRIM_400000_NS6detail17trampoline_kernelINS0_14default_configENS1_22reduce_config_selectorIN6thrust23THRUST_200600_302600_NS5tupleIbffNS6_9null_typeES8_S8_S8_S8_S8_S8_EEEEZNS1_11reduce_implILb1ES3_PS9_SC_S9_12reduce_tupleIifEEE10hipError_tPvRmT1_T2_T3_mT4_P12ihipStream_tbEUlT_E0_NS1_11comp_targetILNS1_3genE5ELNS1_11target_archE942ELNS1_3gpuE9ELNS1_3repE0EEENS1_30default_config_static_selectorELNS0_4arch9wavefront6targetE0EEEvSI_.has_dyn_sized_stack, 0
	.set _ZN7rocprim17ROCPRIM_400000_NS6detail17trampoline_kernelINS0_14default_configENS1_22reduce_config_selectorIN6thrust23THRUST_200600_302600_NS5tupleIbffNS6_9null_typeES8_S8_S8_S8_S8_S8_EEEEZNS1_11reduce_implILb1ES3_PS9_SC_S9_12reduce_tupleIifEEE10hipError_tPvRmT1_T2_T3_mT4_P12ihipStream_tbEUlT_E0_NS1_11comp_targetILNS1_3genE5ELNS1_11target_archE942ELNS1_3gpuE9ELNS1_3repE0EEENS1_30default_config_static_selectorELNS0_4arch9wavefront6targetE0EEEvSI_.has_recursion, 0
	.set _ZN7rocprim17ROCPRIM_400000_NS6detail17trampoline_kernelINS0_14default_configENS1_22reduce_config_selectorIN6thrust23THRUST_200600_302600_NS5tupleIbffNS6_9null_typeES8_S8_S8_S8_S8_S8_EEEEZNS1_11reduce_implILb1ES3_PS9_SC_S9_12reduce_tupleIifEEE10hipError_tPvRmT1_T2_T3_mT4_P12ihipStream_tbEUlT_E0_NS1_11comp_targetILNS1_3genE5ELNS1_11target_archE942ELNS1_3gpuE9ELNS1_3repE0EEENS1_30default_config_static_selectorELNS0_4arch9wavefront6targetE0EEEvSI_.has_indirect_call, 0
	.section	.AMDGPU.csdata,"",@progbits
; Kernel info:
; codeLenInByte = 0
; TotalNumSgprs: 0
; NumVgprs: 0
; ScratchSize: 0
; MemoryBound: 0
; FloatMode: 240
; IeeeMode: 1
; LDSByteSize: 0 bytes/workgroup (compile time only)
; SGPRBlocks: 0
; VGPRBlocks: 0
; NumSGPRsForWavesPerEU: 1
; NumVGPRsForWavesPerEU: 1
; NamedBarCnt: 0
; Occupancy: 16
; WaveLimiterHint : 0
; COMPUTE_PGM_RSRC2:SCRATCH_EN: 0
; COMPUTE_PGM_RSRC2:USER_SGPR: 2
; COMPUTE_PGM_RSRC2:TRAP_HANDLER: 0
; COMPUTE_PGM_RSRC2:TGID_X_EN: 1
; COMPUTE_PGM_RSRC2:TGID_Y_EN: 0
; COMPUTE_PGM_RSRC2:TGID_Z_EN: 0
; COMPUTE_PGM_RSRC2:TIDIG_COMP_CNT: 0
	.section	.text._ZN7rocprim17ROCPRIM_400000_NS6detail17trampoline_kernelINS0_14default_configENS1_22reduce_config_selectorIN6thrust23THRUST_200600_302600_NS5tupleIbffNS6_9null_typeES8_S8_S8_S8_S8_S8_EEEEZNS1_11reduce_implILb1ES3_PS9_SC_S9_12reduce_tupleIifEEE10hipError_tPvRmT1_T2_T3_mT4_P12ihipStream_tbEUlT_E0_NS1_11comp_targetILNS1_3genE4ELNS1_11target_archE910ELNS1_3gpuE8ELNS1_3repE0EEENS1_30default_config_static_selectorELNS0_4arch9wavefront6targetE0EEEvSI_,"axG",@progbits,_ZN7rocprim17ROCPRIM_400000_NS6detail17trampoline_kernelINS0_14default_configENS1_22reduce_config_selectorIN6thrust23THRUST_200600_302600_NS5tupleIbffNS6_9null_typeES8_S8_S8_S8_S8_S8_EEEEZNS1_11reduce_implILb1ES3_PS9_SC_S9_12reduce_tupleIifEEE10hipError_tPvRmT1_T2_T3_mT4_P12ihipStream_tbEUlT_E0_NS1_11comp_targetILNS1_3genE4ELNS1_11target_archE910ELNS1_3gpuE8ELNS1_3repE0EEENS1_30default_config_static_selectorELNS0_4arch9wavefront6targetE0EEEvSI_,comdat
	.protected	_ZN7rocprim17ROCPRIM_400000_NS6detail17trampoline_kernelINS0_14default_configENS1_22reduce_config_selectorIN6thrust23THRUST_200600_302600_NS5tupleIbffNS6_9null_typeES8_S8_S8_S8_S8_S8_EEEEZNS1_11reduce_implILb1ES3_PS9_SC_S9_12reduce_tupleIifEEE10hipError_tPvRmT1_T2_T3_mT4_P12ihipStream_tbEUlT_E0_NS1_11comp_targetILNS1_3genE4ELNS1_11target_archE910ELNS1_3gpuE8ELNS1_3repE0EEENS1_30default_config_static_selectorELNS0_4arch9wavefront6targetE0EEEvSI_ ; -- Begin function _ZN7rocprim17ROCPRIM_400000_NS6detail17trampoline_kernelINS0_14default_configENS1_22reduce_config_selectorIN6thrust23THRUST_200600_302600_NS5tupleIbffNS6_9null_typeES8_S8_S8_S8_S8_S8_EEEEZNS1_11reduce_implILb1ES3_PS9_SC_S9_12reduce_tupleIifEEE10hipError_tPvRmT1_T2_T3_mT4_P12ihipStream_tbEUlT_E0_NS1_11comp_targetILNS1_3genE4ELNS1_11target_archE910ELNS1_3gpuE8ELNS1_3repE0EEENS1_30default_config_static_selectorELNS0_4arch9wavefront6targetE0EEEvSI_
	.globl	_ZN7rocprim17ROCPRIM_400000_NS6detail17trampoline_kernelINS0_14default_configENS1_22reduce_config_selectorIN6thrust23THRUST_200600_302600_NS5tupleIbffNS6_9null_typeES8_S8_S8_S8_S8_S8_EEEEZNS1_11reduce_implILb1ES3_PS9_SC_S9_12reduce_tupleIifEEE10hipError_tPvRmT1_T2_T3_mT4_P12ihipStream_tbEUlT_E0_NS1_11comp_targetILNS1_3genE4ELNS1_11target_archE910ELNS1_3gpuE8ELNS1_3repE0EEENS1_30default_config_static_selectorELNS0_4arch9wavefront6targetE0EEEvSI_
	.p2align	8
	.type	_ZN7rocprim17ROCPRIM_400000_NS6detail17trampoline_kernelINS0_14default_configENS1_22reduce_config_selectorIN6thrust23THRUST_200600_302600_NS5tupleIbffNS6_9null_typeES8_S8_S8_S8_S8_S8_EEEEZNS1_11reduce_implILb1ES3_PS9_SC_S9_12reduce_tupleIifEEE10hipError_tPvRmT1_T2_T3_mT4_P12ihipStream_tbEUlT_E0_NS1_11comp_targetILNS1_3genE4ELNS1_11target_archE910ELNS1_3gpuE8ELNS1_3repE0EEENS1_30default_config_static_selectorELNS0_4arch9wavefront6targetE0EEEvSI_,@function
_ZN7rocprim17ROCPRIM_400000_NS6detail17trampoline_kernelINS0_14default_configENS1_22reduce_config_selectorIN6thrust23THRUST_200600_302600_NS5tupleIbffNS6_9null_typeES8_S8_S8_S8_S8_S8_EEEEZNS1_11reduce_implILb1ES3_PS9_SC_S9_12reduce_tupleIifEEE10hipError_tPvRmT1_T2_T3_mT4_P12ihipStream_tbEUlT_E0_NS1_11comp_targetILNS1_3genE4ELNS1_11target_archE910ELNS1_3gpuE8ELNS1_3repE0EEENS1_30default_config_static_selectorELNS0_4arch9wavefront6targetE0EEEvSI_: ; @_ZN7rocprim17ROCPRIM_400000_NS6detail17trampoline_kernelINS0_14default_configENS1_22reduce_config_selectorIN6thrust23THRUST_200600_302600_NS5tupleIbffNS6_9null_typeES8_S8_S8_S8_S8_S8_EEEEZNS1_11reduce_implILb1ES3_PS9_SC_S9_12reduce_tupleIifEEE10hipError_tPvRmT1_T2_T3_mT4_P12ihipStream_tbEUlT_E0_NS1_11comp_targetILNS1_3genE4ELNS1_11target_archE910ELNS1_3gpuE8ELNS1_3repE0EEENS1_30default_config_static_selectorELNS0_4arch9wavefront6targetE0EEEvSI_
; %bb.0:
	.section	.rodata,"a",@progbits
	.p2align	6, 0x0
	.amdhsa_kernel _ZN7rocprim17ROCPRIM_400000_NS6detail17trampoline_kernelINS0_14default_configENS1_22reduce_config_selectorIN6thrust23THRUST_200600_302600_NS5tupleIbffNS6_9null_typeES8_S8_S8_S8_S8_S8_EEEEZNS1_11reduce_implILb1ES3_PS9_SC_S9_12reduce_tupleIifEEE10hipError_tPvRmT1_T2_T3_mT4_P12ihipStream_tbEUlT_E0_NS1_11comp_targetILNS1_3genE4ELNS1_11target_archE910ELNS1_3gpuE8ELNS1_3repE0EEENS1_30default_config_static_selectorELNS0_4arch9wavefront6targetE0EEEvSI_
		.amdhsa_group_segment_fixed_size 0
		.amdhsa_private_segment_fixed_size 0
		.amdhsa_kernarg_size 64
		.amdhsa_user_sgpr_count 2
		.amdhsa_user_sgpr_dispatch_ptr 0
		.amdhsa_user_sgpr_queue_ptr 0
		.amdhsa_user_sgpr_kernarg_segment_ptr 1
		.amdhsa_user_sgpr_dispatch_id 0
		.amdhsa_user_sgpr_kernarg_preload_length 0
		.amdhsa_user_sgpr_kernarg_preload_offset 0
		.amdhsa_user_sgpr_private_segment_size 0
		.amdhsa_wavefront_size32 1
		.amdhsa_uses_dynamic_stack 0
		.amdhsa_enable_private_segment 0
		.amdhsa_system_sgpr_workgroup_id_x 1
		.amdhsa_system_sgpr_workgroup_id_y 0
		.amdhsa_system_sgpr_workgroup_id_z 0
		.amdhsa_system_sgpr_workgroup_info 0
		.amdhsa_system_vgpr_workitem_id 0
		.amdhsa_next_free_vgpr 1
		.amdhsa_next_free_sgpr 1
		.amdhsa_named_barrier_count 0
		.amdhsa_reserve_vcc 0
		.amdhsa_float_round_mode_32 0
		.amdhsa_float_round_mode_16_64 0
		.amdhsa_float_denorm_mode_32 3
		.amdhsa_float_denorm_mode_16_64 3
		.amdhsa_fp16_overflow 0
		.amdhsa_memory_ordered 1
		.amdhsa_forward_progress 1
		.amdhsa_inst_pref_size 0
		.amdhsa_round_robin_scheduling 0
		.amdhsa_exception_fp_ieee_invalid_op 0
		.amdhsa_exception_fp_denorm_src 0
		.amdhsa_exception_fp_ieee_div_zero 0
		.amdhsa_exception_fp_ieee_overflow 0
		.amdhsa_exception_fp_ieee_underflow 0
		.amdhsa_exception_fp_ieee_inexact 0
		.amdhsa_exception_int_div_zero 0
	.end_amdhsa_kernel
	.section	.text._ZN7rocprim17ROCPRIM_400000_NS6detail17trampoline_kernelINS0_14default_configENS1_22reduce_config_selectorIN6thrust23THRUST_200600_302600_NS5tupleIbffNS6_9null_typeES8_S8_S8_S8_S8_S8_EEEEZNS1_11reduce_implILb1ES3_PS9_SC_S9_12reduce_tupleIifEEE10hipError_tPvRmT1_T2_T3_mT4_P12ihipStream_tbEUlT_E0_NS1_11comp_targetILNS1_3genE4ELNS1_11target_archE910ELNS1_3gpuE8ELNS1_3repE0EEENS1_30default_config_static_selectorELNS0_4arch9wavefront6targetE0EEEvSI_,"axG",@progbits,_ZN7rocprim17ROCPRIM_400000_NS6detail17trampoline_kernelINS0_14default_configENS1_22reduce_config_selectorIN6thrust23THRUST_200600_302600_NS5tupleIbffNS6_9null_typeES8_S8_S8_S8_S8_S8_EEEEZNS1_11reduce_implILb1ES3_PS9_SC_S9_12reduce_tupleIifEEE10hipError_tPvRmT1_T2_T3_mT4_P12ihipStream_tbEUlT_E0_NS1_11comp_targetILNS1_3genE4ELNS1_11target_archE910ELNS1_3gpuE8ELNS1_3repE0EEENS1_30default_config_static_selectorELNS0_4arch9wavefront6targetE0EEEvSI_,comdat
.Lfunc_end3:
	.size	_ZN7rocprim17ROCPRIM_400000_NS6detail17trampoline_kernelINS0_14default_configENS1_22reduce_config_selectorIN6thrust23THRUST_200600_302600_NS5tupleIbffNS6_9null_typeES8_S8_S8_S8_S8_S8_EEEEZNS1_11reduce_implILb1ES3_PS9_SC_S9_12reduce_tupleIifEEE10hipError_tPvRmT1_T2_T3_mT4_P12ihipStream_tbEUlT_E0_NS1_11comp_targetILNS1_3genE4ELNS1_11target_archE910ELNS1_3gpuE8ELNS1_3repE0EEENS1_30default_config_static_selectorELNS0_4arch9wavefront6targetE0EEEvSI_, .Lfunc_end3-_ZN7rocprim17ROCPRIM_400000_NS6detail17trampoline_kernelINS0_14default_configENS1_22reduce_config_selectorIN6thrust23THRUST_200600_302600_NS5tupleIbffNS6_9null_typeES8_S8_S8_S8_S8_S8_EEEEZNS1_11reduce_implILb1ES3_PS9_SC_S9_12reduce_tupleIifEEE10hipError_tPvRmT1_T2_T3_mT4_P12ihipStream_tbEUlT_E0_NS1_11comp_targetILNS1_3genE4ELNS1_11target_archE910ELNS1_3gpuE8ELNS1_3repE0EEENS1_30default_config_static_selectorELNS0_4arch9wavefront6targetE0EEEvSI_
                                        ; -- End function
	.set _ZN7rocprim17ROCPRIM_400000_NS6detail17trampoline_kernelINS0_14default_configENS1_22reduce_config_selectorIN6thrust23THRUST_200600_302600_NS5tupleIbffNS6_9null_typeES8_S8_S8_S8_S8_S8_EEEEZNS1_11reduce_implILb1ES3_PS9_SC_S9_12reduce_tupleIifEEE10hipError_tPvRmT1_T2_T3_mT4_P12ihipStream_tbEUlT_E0_NS1_11comp_targetILNS1_3genE4ELNS1_11target_archE910ELNS1_3gpuE8ELNS1_3repE0EEENS1_30default_config_static_selectorELNS0_4arch9wavefront6targetE0EEEvSI_.num_vgpr, 0
	.set _ZN7rocprim17ROCPRIM_400000_NS6detail17trampoline_kernelINS0_14default_configENS1_22reduce_config_selectorIN6thrust23THRUST_200600_302600_NS5tupleIbffNS6_9null_typeES8_S8_S8_S8_S8_S8_EEEEZNS1_11reduce_implILb1ES3_PS9_SC_S9_12reduce_tupleIifEEE10hipError_tPvRmT1_T2_T3_mT4_P12ihipStream_tbEUlT_E0_NS1_11comp_targetILNS1_3genE4ELNS1_11target_archE910ELNS1_3gpuE8ELNS1_3repE0EEENS1_30default_config_static_selectorELNS0_4arch9wavefront6targetE0EEEvSI_.num_agpr, 0
	.set _ZN7rocprim17ROCPRIM_400000_NS6detail17trampoline_kernelINS0_14default_configENS1_22reduce_config_selectorIN6thrust23THRUST_200600_302600_NS5tupleIbffNS6_9null_typeES8_S8_S8_S8_S8_S8_EEEEZNS1_11reduce_implILb1ES3_PS9_SC_S9_12reduce_tupleIifEEE10hipError_tPvRmT1_T2_T3_mT4_P12ihipStream_tbEUlT_E0_NS1_11comp_targetILNS1_3genE4ELNS1_11target_archE910ELNS1_3gpuE8ELNS1_3repE0EEENS1_30default_config_static_selectorELNS0_4arch9wavefront6targetE0EEEvSI_.numbered_sgpr, 0
	.set _ZN7rocprim17ROCPRIM_400000_NS6detail17trampoline_kernelINS0_14default_configENS1_22reduce_config_selectorIN6thrust23THRUST_200600_302600_NS5tupleIbffNS6_9null_typeES8_S8_S8_S8_S8_S8_EEEEZNS1_11reduce_implILb1ES3_PS9_SC_S9_12reduce_tupleIifEEE10hipError_tPvRmT1_T2_T3_mT4_P12ihipStream_tbEUlT_E0_NS1_11comp_targetILNS1_3genE4ELNS1_11target_archE910ELNS1_3gpuE8ELNS1_3repE0EEENS1_30default_config_static_selectorELNS0_4arch9wavefront6targetE0EEEvSI_.num_named_barrier, 0
	.set _ZN7rocprim17ROCPRIM_400000_NS6detail17trampoline_kernelINS0_14default_configENS1_22reduce_config_selectorIN6thrust23THRUST_200600_302600_NS5tupleIbffNS6_9null_typeES8_S8_S8_S8_S8_S8_EEEEZNS1_11reduce_implILb1ES3_PS9_SC_S9_12reduce_tupleIifEEE10hipError_tPvRmT1_T2_T3_mT4_P12ihipStream_tbEUlT_E0_NS1_11comp_targetILNS1_3genE4ELNS1_11target_archE910ELNS1_3gpuE8ELNS1_3repE0EEENS1_30default_config_static_selectorELNS0_4arch9wavefront6targetE0EEEvSI_.private_seg_size, 0
	.set _ZN7rocprim17ROCPRIM_400000_NS6detail17trampoline_kernelINS0_14default_configENS1_22reduce_config_selectorIN6thrust23THRUST_200600_302600_NS5tupleIbffNS6_9null_typeES8_S8_S8_S8_S8_S8_EEEEZNS1_11reduce_implILb1ES3_PS9_SC_S9_12reduce_tupleIifEEE10hipError_tPvRmT1_T2_T3_mT4_P12ihipStream_tbEUlT_E0_NS1_11comp_targetILNS1_3genE4ELNS1_11target_archE910ELNS1_3gpuE8ELNS1_3repE0EEENS1_30default_config_static_selectorELNS0_4arch9wavefront6targetE0EEEvSI_.uses_vcc, 0
	.set _ZN7rocprim17ROCPRIM_400000_NS6detail17trampoline_kernelINS0_14default_configENS1_22reduce_config_selectorIN6thrust23THRUST_200600_302600_NS5tupleIbffNS6_9null_typeES8_S8_S8_S8_S8_S8_EEEEZNS1_11reduce_implILb1ES3_PS9_SC_S9_12reduce_tupleIifEEE10hipError_tPvRmT1_T2_T3_mT4_P12ihipStream_tbEUlT_E0_NS1_11comp_targetILNS1_3genE4ELNS1_11target_archE910ELNS1_3gpuE8ELNS1_3repE0EEENS1_30default_config_static_selectorELNS0_4arch9wavefront6targetE0EEEvSI_.uses_flat_scratch, 0
	.set _ZN7rocprim17ROCPRIM_400000_NS6detail17trampoline_kernelINS0_14default_configENS1_22reduce_config_selectorIN6thrust23THRUST_200600_302600_NS5tupleIbffNS6_9null_typeES8_S8_S8_S8_S8_S8_EEEEZNS1_11reduce_implILb1ES3_PS9_SC_S9_12reduce_tupleIifEEE10hipError_tPvRmT1_T2_T3_mT4_P12ihipStream_tbEUlT_E0_NS1_11comp_targetILNS1_3genE4ELNS1_11target_archE910ELNS1_3gpuE8ELNS1_3repE0EEENS1_30default_config_static_selectorELNS0_4arch9wavefront6targetE0EEEvSI_.has_dyn_sized_stack, 0
	.set _ZN7rocprim17ROCPRIM_400000_NS6detail17trampoline_kernelINS0_14default_configENS1_22reduce_config_selectorIN6thrust23THRUST_200600_302600_NS5tupleIbffNS6_9null_typeES8_S8_S8_S8_S8_S8_EEEEZNS1_11reduce_implILb1ES3_PS9_SC_S9_12reduce_tupleIifEEE10hipError_tPvRmT1_T2_T3_mT4_P12ihipStream_tbEUlT_E0_NS1_11comp_targetILNS1_3genE4ELNS1_11target_archE910ELNS1_3gpuE8ELNS1_3repE0EEENS1_30default_config_static_selectorELNS0_4arch9wavefront6targetE0EEEvSI_.has_recursion, 0
	.set _ZN7rocprim17ROCPRIM_400000_NS6detail17trampoline_kernelINS0_14default_configENS1_22reduce_config_selectorIN6thrust23THRUST_200600_302600_NS5tupleIbffNS6_9null_typeES8_S8_S8_S8_S8_S8_EEEEZNS1_11reduce_implILb1ES3_PS9_SC_S9_12reduce_tupleIifEEE10hipError_tPvRmT1_T2_T3_mT4_P12ihipStream_tbEUlT_E0_NS1_11comp_targetILNS1_3genE4ELNS1_11target_archE910ELNS1_3gpuE8ELNS1_3repE0EEENS1_30default_config_static_selectorELNS0_4arch9wavefront6targetE0EEEvSI_.has_indirect_call, 0
	.section	.AMDGPU.csdata,"",@progbits
; Kernel info:
; codeLenInByte = 0
; TotalNumSgprs: 0
; NumVgprs: 0
; ScratchSize: 0
; MemoryBound: 0
; FloatMode: 240
; IeeeMode: 1
; LDSByteSize: 0 bytes/workgroup (compile time only)
; SGPRBlocks: 0
; VGPRBlocks: 0
; NumSGPRsForWavesPerEU: 1
; NumVGPRsForWavesPerEU: 1
; NamedBarCnt: 0
; Occupancy: 16
; WaveLimiterHint : 0
; COMPUTE_PGM_RSRC2:SCRATCH_EN: 0
; COMPUTE_PGM_RSRC2:USER_SGPR: 2
; COMPUTE_PGM_RSRC2:TRAP_HANDLER: 0
; COMPUTE_PGM_RSRC2:TGID_X_EN: 1
; COMPUTE_PGM_RSRC2:TGID_Y_EN: 0
; COMPUTE_PGM_RSRC2:TGID_Z_EN: 0
; COMPUTE_PGM_RSRC2:TIDIG_COMP_CNT: 0
	.section	.text._ZN7rocprim17ROCPRIM_400000_NS6detail17trampoline_kernelINS0_14default_configENS1_22reduce_config_selectorIN6thrust23THRUST_200600_302600_NS5tupleIbffNS6_9null_typeES8_S8_S8_S8_S8_S8_EEEEZNS1_11reduce_implILb1ES3_PS9_SC_S9_12reduce_tupleIifEEE10hipError_tPvRmT1_T2_T3_mT4_P12ihipStream_tbEUlT_E0_NS1_11comp_targetILNS1_3genE3ELNS1_11target_archE908ELNS1_3gpuE7ELNS1_3repE0EEENS1_30default_config_static_selectorELNS0_4arch9wavefront6targetE0EEEvSI_,"axG",@progbits,_ZN7rocprim17ROCPRIM_400000_NS6detail17trampoline_kernelINS0_14default_configENS1_22reduce_config_selectorIN6thrust23THRUST_200600_302600_NS5tupleIbffNS6_9null_typeES8_S8_S8_S8_S8_S8_EEEEZNS1_11reduce_implILb1ES3_PS9_SC_S9_12reduce_tupleIifEEE10hipError_tPvRmT1_T2_T3_mT4_P12ihipStream_tbEUlT_E0_NS1_11comp_targetILNS1_3genE3ELNS1_11target_archE908ELNS1_3gpuE7ELNS1_3repE0EEENS1_30default_config_static_selectorELNS0_4arch9wavefront6targetE0EEEvSI_,comdat
	.protected	_ZN7rocprim17ROCPRIM_400000_NS6detail17trampoline_kernelINS0_14default_configENS1_22reduce_config_selectorIN6thrust23THRUST_200600_302600_NS5tupleIbffNS6_9null_typeES8_S8_S8_S8_S8_S8_EEEEZNS1_11reduce_implILb1ES3_PS9_SC_S9_12reduce_tupleIifEEE10hipError_tPvRmT1_T2_T3_mT4_P12ihipStream_tbEUlT_E0_NS1_11comp_targetILNS1_3genE3ELNS1_11target_archE908ELNS1_3gpuE7ELNS1_3repE0EEENS1_30default_config_static_selectorELNS0_4arch9wavefront6targetE0EEEvSI_ ; -- Begin function _ZN7rocprim17ROCPRIM_400000_NS6detail17trampoline_kernelINS0_14default_configENS1_22reduce_config_selectorIN6thrust23THRUST_200600_302600_NS5tupleIbffNS6_9null_typeES8_S8_S8_S8_S8_S8_EEEEZNS1_11reduce_implILb1ES3_PS9_SC_S9_12reduce_tupleIifEEE10hipError_tPvRmT1_T2_T3_mT4_P12ihipStream_tbEUlT_E0_NS1_11comp_targetILNS1_3genE3ELNS1_11target_archE908ELNS1_3gpuE7ELNS1_3repE0EEENS1_30default_config_static_selectorELNS0_4arch9wavefront6targetE0EEEvSI_
	.globl	_ZN7rocprim17ROCPRIM_400000_NS6detail17trampoline_kernelINS0_14default_configENS1_22reduce_config_selectorIN6thrust23THRUST_200600_302600_NS5tupleIbffNS6_9null_typeES8_S8_S8_S8_S8_S8_EEEEZNS1_11reduce_implILb1ES3_PS9_SC_S9_12reduce_tupleIifEEE10hipError_tPvRmT1_T2_T3_mT4_P12ihipStream_tbEUlT_E0_NS1_11comp_targetILNS1_3genE3ELNS1_11target_archE908ELNS1_3gpuE7ELNS1_3repE0EEENS1_30default_config_static_selectorELNS0_4arch9wavefront6targetE0EEEvSI_
	.p2align	8
	.type	_ZN7rocprim17ROCPRIM_400000_NS6detail17trampoline_kernelINS0_14default_configENS1_22reduce_config_selectorIN6thrust23THRUST_200600_302600_NS5tupleIbffNS6_9null_typeES8_S8_S8_S8_S8_S8_EEEEZNS1_11reduce_implILb1ES3_PS9_SC_S9_12reduce_tupleIifEEE10hipError_tPvRmT1_T2_T3_mT4_P12ihipStream_tbEUlT_E0_NS1_11comp_targetILNS1_3genE3ELNS1_11target_archE908ELNS1_3gpuE7ELNS1_3repE0EEENS1_30default_config_static_selectorELNS0_4arch9wavefront6targetE0EEEvSI_,@function
_ZN7rocprim17ROCPRIM_400000_NS6detail17trampoline_kernelINS0_14default_configENS1_22reduce_config_selectorIN6thrust23THRUST_200600_302600_NS5tupleIbffNS6_9null_typeES8_S8_S8_S8_S8_S8_EEEEZNS1_11reduce_implILb1ES3_PS9_SC_S9_12reduce_tupleIifEEE10hipError_tPvRmT1_T2_T3_mT4_P12ihipStream_tbEUlT_E0_NS1_11comp_targetILNS1_3genE3ELNS1_11target_archE908ELNS1_3gpuE7ELNS1_3repE0EEENS1_30default_config_static_selectorELNS0_4arch9wavefront6targetE0EEEvSI_: ; @_ZN7rocprim17ROCPRIM_400000_NS6detail17trampoline_kernelINS0_14default_configENS1_22reduce_config_selectorIN6thrust23THRUST_200600_302600_NS5tupleIbffNS6_9null_typeES8_S8_S8_S8_S8_S8_EEEEZNS1_11reduce_implILb1ES3_PS9_SC_S9_12reduce_tupleIifEEE10hipError_tPvRmT1_T2_T3_mT4_P12ihipStream_tbEUlT_E0_NS1_11comp_targetILNS1_3genE3ELNS1_11target_archE908ELNS1_3gpuE7ELNS1_3repE0EEENS1_30default_config_static_selectorELNS0_4arch9wavefront6targetE0EEEvSI_
; %bb.0:
	.section	.rodata,"a",@progbits
	.p2align	6, 0x0
	.amdhsa_kernel _ZN7rocprim17ROCPRIM_400000_NS6detail17trampoline_kernelINS0_14default_configENS1_22reduce_config_selectorIN6thrust23THRUST_200600_302600_NS5tupleIbffNS6_9null_typeES8_S8_S8_S8_S8_S8_EEEEZNS1_11reduce_implILb1ES3_PS9_SC_S9_12reduce_tupleIifEEE10hipError_tPvRmT1_T2_T3_mT4_P12ihipStream_tbEUlT_E0_NS1_11comp_targetILNS1_3genE3ELNS1_11target_archE908ELNS1_3gpuE7ELNS1_3repE0EEENS1_30default_config_static_selectorELNS0_4arch9wavefront6targetE0EEEvSI_
		.amdhsa_group_segment_fixed_size 0
		.amdhsa_private_segment_fixed_size 0
		.amdhsa_kernarg_size 64
		.amdhsa_user_sgpr_count 2
		.amdhsa_user_sgpr_dispatch_ptr 0
		.amdhsa_user_sgpr_queue_ptr 0
		.amdhsa_user_sgpr_kernarg_segment_ptr 1
		.amdhsa_user_sgpr_dispatch_id 0
		.amdhsa_user_sgpr_kernarg_preload_length 0
		.amdhsa_user_sgpr_kernarg_preload_offset 0
		.amdhsa_user_sgpr_private_segment_size 0
		.amdhsa_wavefront_size32 1
		.amdhsa_uses_dynamic_stack 0
		.amdhsa_enable_private_segment 0
		.amdhsa_system_sgpr_workgroup_id_x 1
		.amdhsa_system_sgpr_workgroup_id_y 0
		.amdhsa_system_sgpr_workgroup_id_z 0
		.amdhsa_system_sgpr_workgroup_info 0
		.amdhsa_system_vgpr_workitem_id 0
		.amdhsa_next_free_vgpr 1
		.amdhsa_next_free_sgpr 1
		.amdhsa_named_barrier_count 0
		.amdhsa_reserve_vcc 0
		.amdhsa_float_round_mode_32 0
		.amdhsa_float_round_mode_16_64 0
		.amdhsa_float_denorm_mode_32 3
		.amdhsa_float_denorm_mode_16_64 3
		.amdhsa_fp16_overflow 0
		.amdhsa_memory_ordered 1
		.amdhsa_forward_progress 1
		.amdhsa_inst_pref_size 0
		.amdhsa_round_robin_scheduling 0
		.amdhsa_exception_fp_ieee_invalid_op 0
		.amdhsa_exception_fp_denorm_src 0
		.amdhsa_exception_fp_ieee_div_zero 0
		.amdhsa_exception_fp_ieee_overflow 0
		.amdhsa_exception_fp_ieee_underflow 0
		.amdhsa_exception_fp_ieee_inexact 0
		.amdhsa_exception_int_div_zero 0
	.end_amdhsa_kernel
	.section	.text._ZN7rocprim17ROCPRIM_400000_NS6detail17trampoline_kernelINS0_14default_configENS1_22reduce_config_selectorIN6thrust23THRUST_200600_302600_NS5tupleIbffNS6_9null_typeES8_S8_S8_S8_S8_S8_EEEEZNS1_11reduce_implILb1ES3_PS9_SC_S9_12reduce_tupleIifEEE10hipError_tPvRmT1_T2_T3_mT4_P12ihipStream_tbEUlT_E0_NS1_11comp_targetILNS1_3genE3ELNS1_11target_archE908ELNS1_3gpuE7ELNS1_3repE0EEENS1_30default_config_static_selectorELNS0_4arch9wavefront6targetE0EEEvSI_,"axG",@progbits,_ZN7rocprim17ROCPRIM_400000_NS6detail17trampoline_kernelINS0_14default_configENS1_22reduce_config_selectorIN6thrust23THRUST_200600_302600_NS5tupleIbffNS6_9null_typeES8_S8_S8_S8_S8_S8_EEEEZNS1_11reduce_implILb1ES3_PS9_SC_S9_12reduce_tupleIifEEE10hipError_tPvRmT1_T2_T3_mT4_P12ihipStream_tbEUlT_E0_NS1_11comp_targetILNS1_3genE3ELNS1_11target_archE908ELNS1_3gpuE7ELNS1_3repE0EEENS1_30default_config_static_selectorELNS0_4arch9wavefront6targetE0EEEvSI_,comdat
.Lfunc_end4:
	.size	_ZN7rocprim17ROCPRIM_400000_NS6detail17trampoline_kernelINS0_14default_configENS1_22reduce_config_selectorIN6thrust23THRUST_200600_302600_NS5tupleIbffNS6_9null_typeES8_S8_S8_S8_S8_S8_EEEEZNS1_11reduce_implILb1ES3_PS9_SC_S9_12reduce_tupleIifEEE10hipError_tPvRmT1_T2_T3_mT4_P12ihipStream_tbEUlT_E0_NS1_11comp_targetILNS1_3genE3ELNS1_11target_archE908ELNS1_3gpuE7ELNS1_3repE0EEENS1_30default_config_static_selectorELNS0_4arch9wavefront6targetE0EEEvSI_, .Lfunc_end4-_ZN7rocprim17ROCPRIM_400000_NS6detail17trampoline_kernelINS0_14default_configENS1_22reduce_config_selectorIN6thrust23THRUST_200600_302600_NS5tupleIbffNS6_9null_typeES8_S8_S8_S8_S8_S8_EEEEZNS1_11reduce_implILb1ES3_PS9_SC_S9_12reduce_tupleIifEEE10hipError_tPvRmT1_T2_T3_mT4_P12ihipStream_tbEUlT_E0_NS1_11comp_targetILNS1_3genE3ELNS1_11target_archE908ELNS1_3gpuE7ELNS1_3repE0EEENS1_30default_config_static_selectorELNS0_4arch9wavefront6targetE0EEEvSI_
                                        ; -- End function
	.set _ZN7rocprim17ROCPRIM_400000_NS6detail17trampoline_kernelINS0_14default_configENS1_22reduce_config_selectorIN6thrust23THRUST_200600_302600_NS5tupleIbffNS6_9null_typeES8_S8_S8_S8_S8_S8_EEEEZNS1_11reduce_implILb1ES3_PS9_SC_S9_12reduce_tupleIifEEE10hipError_tPvRmT1_T2_T3_mT4_P12ihipStream_tbEUlT_E0_NS1_11comp_targetILNS1_3genE3ELNS1_11target_archE908ELNS1_3gpuE7ELNS1_3repE0EEENS1_30default_config_static_selectorELNS0_4arch9wavefront6targetE0EEEvSI_.num_vgpr, 0
	.set _ZN7rocprim17ROCPRIM_400000_NS6detail17trampoline_kernelINS0_14default_configENS1_22reduce_config_selectorIN6thrust23THRUST_200600_302600_NS5tupleIbffNS6_9null_typeES8_S8_S8_S8_S8_S8_EEEEZNS1_11reduce_implILb1ES3_PS9_SC_S9_12reduce_tupleIifEEE10hipError_tPvRmT1_T2_T3_mT4_P12ihipStream_tbEUlT_E0_NS1_11comp_targetILNS1_3genE3ELNS1_11target_archE908ELNS1_3gpuE7ELNS1_3repE0EEENS1_30default_config_static_selectorELNS0_4arch9wavefront6targetE0EEEvSI_.num_agpr, 0
	.set _ZN7rocprim17ROCPRIM_400000_NS6detail17trampoline_kernelINS0_14default_configENS1_22reduce_config_selectorIN6thrust23THRUST_200600_302600_NS5tupleIbffNS6_9null_typeES8_S8_S8_S8_S8_S8_EEEEZNS1_11reduce_implILb1ES3_PS9_SC_S9_12reduce_tupleIifEEE10hipError_tPvRmT1_T2_T3_mT4_P12ihipStream_tbEUlT_E0_NS1_11comp_targetILNS1_3genE3ELNS1_11target_archE908ELNS1_3gpuE7ELNS1_3repE0EEENS1_30default_config_static_selectorELNS0_4arch9wavefront6targetE0EEEvSI_.numbered_sgpr, 0
	.set _ZN7rocprim17ROCPRIM_400000_NS6detail17trampoline_kernelINS0_14default_configENS1_22reduce_config_selectorIN6thrust23THRUST_200600_302600_NS5tupleIbffNS6_9null_typeES8_S8_S8_S8_S8_S8_EEEEZNS1_11reduce_implILb1ES3_PS9_SC_S9_12reduce_tupleIifEEE10hipError_tPvRmT1_T2_T3_mT4_P12ihipStream_tbEUlT_E0_NS1_11comp_targetILNS1_3genE3ELNS1_11target_archE908ELNS1_3gpuE7ELNS1_3repE0EEENS1_30default_config_static_selectorELNS0_4arch9wavefront6targetE0EEEvSI_.num_named_barrier, 0
	.set _ZN7rocprim17ROCPRIM_400000_NS6detail17trampoline_kernelINS0_14default_configENS1_22reduce_config_selectorIN6thrust23THRUST_200600_302600_NS5tupleIbffNS6_9null_typeES8_S8_S8_S8_S8_S8_EEEEZNS1_11reduce_implILb1ES3_PS9_SC_S9_12reduce_tupleIifEEE10hipError_tPvRmT1_T2_T3_mT4_P12ihipStream_tbEUlT_E0_NS1_11comp_targetILNS1_3genE3ELNS1_11target_archE908ELNS1_3gpuE7ELNS1_3repE0EEENS1_30default_config_static_selectorELNS0_4arch9wavefront6targetE0EEEvSI_.private_seg_size, 0
	.set _ZN7rocprim17ROCPRIM_400000_NS6detail17trampoline_kernelINS0_14default_configENS1_22reduce_config_selectorIN6thrust23THRUST_200600_302600_NS5tupleIbffNS6_9null_typeES8_S8_S8_S8_S8_S8_EEEEZNS1_11reduce_implILb1ES3_PS9_SC_S9_12reduce_tupleIifEEE10hipError_tPvRmT1_T2_T3_mT4_P12ihipStream_tbEUlT_E0_NS1_11comp_targetILNS1_3genE3ELNS1_11target_archE908ELNS1_3gpuE7ELNS1_3repE0EEENS1_30default_config_static_selectorELNS0_4arch9wavefront6targetE0EEEvSI_.uses_vcc, 0
	.set _ZN7rocprim17ROCPRIM_400000_NS6detail17trampoline_kernelINS0_14default_configENS1_22reduce_config_selectorIN6thrust23THRUST_200600_302600_NS5tupleIbffNS6_9null_typeES8_S8_S8_S8_S8_S8_EEEEZNS1_11reduce_implILb1ES3_PS9_SC_S9_12reduce_tupleIifEEE10hipError_tPvRmT1_T2_T3_mT4_P12ihipStream_tbEUlT_E0_NS1_11comp_targetILNS1_3genE3ELNS1_11target_archE908ELNS1_3gpuE7ELNS1_3repE0EEENS1_30default_config_static_selectorELNS0_4arch9wavefront6targetE0EEEvSI_.uses_flat_scratch, 0
	.set _ZN7rocprim17ROCPRIM_400000_NS6detail17trampoline_kernelINS0_14default_configENS1_22reduce_config_selectorIN6thrust23THRUST_200600_302600_NS5tupleIbffNS6_9null_typeES8_S8_S8_S8_S8_S8_EEEEZNS1_11reduce_implILb1ES3_PS9_SC_S9_12reduce_tupleIifEEE10hipError_tPvRmT1_T2_T3_mT4_P12ihipStream_tbEUlT_E0_NS1_11comp_targetILNS1_3genE3ELNS1_11target_archE908ELNS1_3gpuE7ELNS1_3repE0EEENS1_30default_config_static_selectorELNS0_4arch9wavefront6targetE0EEEvSI_.has_dyn_sized_stack, 0
	.set _ZN7rocprim17ROCPRIM_400000_NS6detail17trampoline_kernelINS0_14default_configENS1_22reduce_config_selectorIN6thrust23THRUST_200600_302600_NS5tupleIbffNS6_9null_typeES8_S8_S8_S8_S8_S8_EEEEZNS1_11reduce_implILb1ES3_PS9_SC_S9_12reduce_tupleIifEEE10hipError_tPvRmT1_T2_T3_mT4_P12ihipStream_tbEUlT_E0_NS1_11comp_targetILNS1_3genE3ELNS1_11target_archE908ELNS1_3gpuE7ELNS1_3repE0EEENS1_30default_config_static_selectorELNS0_4arch9wavefront6targetE0EEEvSI_.has_recursion, 0
	.set _ZN7rocprim17ROCPRIM_400000_NS6detail17trampoline_kernelINS0_14default_configENS1_22reduce_config_selectorIN6thrust23THRUST_200600_302600_NS5tupleIbffNS6_9null_typeES8_S8_S8_S8_S8_S8_EEEEZNS1_11reduce_implILb1ES3_PS9_SC_S9_12reduce_tupleIifEEE10hipError_tPvRmT1_T2_T3_mT4_P12ihipStream_tbEUlT_E0_NS1_11comp_targetILNS1_3genE3ELNS1_11target_archE908ELNS1_3gpuE7ELNS1_3repE0EEENS1_30default_config_static_selectorELNS0_4arch9wavefront6targetE0EEEvSI_.has_indirect_call, 0
	.section	.AMDGPU.csdata,"",@progbits
; Kernel info:
; codeLenInByte = 0
; TotalNumSgprs: 0
; NumVgprs: 0
; ScratchSize: 0
; MemoryBound: 0
; FloatMode: 240
; IeeeMode: 1
; LDSByteSize: 0 bytes/workgroup (compile time only)
; SGPRBlocks: 0
; VGPRBlocks: 0
; NumSGPRsForWavesPerEU: 1
; NumVGPRsForWavesPerEU: 1
; NamedBarCnt: 0
; Occupancy: 16
; WaveLimiterHint : 0
; COMPUTE_PGM_RSRC2:SCRATCH_EN: 0
; COMPUTE_PGM_RSRC2:USER_SGPR: 2
; COMPUTE_PGM_RSRC2:TRAP_HANDLER: 0
; COMPUTE_PGM_RSRC2:TGID_X_EN: 1
; COMPUTE_PGM_RSRC2:TGID_Y_EN: 0
; COMPUTE_PGM_RSRC2:TGID_Z_EN: 0
; COMPUTE_PGM_RSRC2:TIDIG_COMP_CNT: 0
	.section	.text._ZN7rocprim17ROCPRIM_400000_NS6detail17trampoline_kernelINS0_14default_configENS1_22reduce_config_selectorIN6thrust23THRUST_200600_302600_NS5tupleIbffNS6_9null_typeES8_S8_S8_S8_S8_S8_EEEEZNS1_11reduce_implILb1ES3_PS9_SC_S9_12reduce_tupleIifEEE10hipError_tPvRmT1_T2_T3_mT4_P12ihipStream_tbEUlT_E0_NS1_11comp_targetILNS1_3genE2ELNS1_11target_archE906ELNS1_3gpuE6ELNS1_3repE0EEENS1_30default_config_static_selectorELNS0_4arch9wavefront6targetE0EEEvSI_,"axG",@progbits,_ZN7rocprim17ROCPRIM_400000_NS6detail17trampoline_kernelINS0_14default_configENS1_22reduce_config_selectorIN6thrust23THRUST_200600_302600_NS5tupleIbffNS6_9null_typeES8_S8_S8_S8_S8_S8_EEEEZNS1_11reduce_implILb1ES3_PS9_SC_S9_12reduce_tupleIifEEE10hipError_tPvRmT1_T2_T3_mT4_P12ihipStream_tbEUlT_E0_NS1_11comp_targetILNS1_3genE2ELNS1_11target_archE906ELNS1_3gpuE6ELNS1_3repE0EEENS1_30default_config_static_selectorELNS0_4arch9wavefront6targetE0EEEvSI_,comdat
	.protected	_ZN7rocprim17ROCPRIM_400000_NS6detail17trampoline_kernelINS0_14default_configENS1_22reduce_config_selectorIN6thrust23THRUST_200600_302600_NS5tupleIbffNS6_9null_typeES8_S8_S8_S8_S8_S8_EEEEZNS1_11reduce_implILb1ES3_PS9_SC_S9_12reduce_tupleIifEEE10hipError_tPvRmT1_T2_T3_mT4_P12ihipStream_tbEUlT_E0_NS1_11comp_targetILNS1_3genE2ELNS1_11target_archE906ELNS1_3gpuE6ELNS1_3repE0EEENS1_30default_config_static_selectorELNS0_4arch9wavefront6targetE0EEEvSI_ ; -- Begin function _ZN7rocprim17ROCPRIM_400000_NS6detail17trampoline_kernelINS0_14default_configENS1_22reduce_config_selectorIN6thrust23THRUST_200600_302600_NS5tupleIbffNS6_9null_typeES8_S8_S8_S8_S8_S8_EEEEZNS1_11reduce_implILb1ES3_PS9_SC_S9_12reduce_tupleIifEEE10hipError_tPvRmT1_T2_T3_mT4_P12ihipStream_tbEUlT_E0_NS1_11comp_targetILNS1_3genE2ELNS1_11target_archE906ELNS1_3gpuE6ELNS1_3repE0EEENS1_30default_config_static_selectorELNS0_4arch9wavefront6targetE0EEEvSI_
	.globl	_ZN7rocprim17ROCPRIM_400000_NS6detail17trampoline_kernelINS0_14default_configENS1_22reduce_config_selectorIN6thrust23THRUST_200600_302600_NS5tupleIbffNS6_9null_typeES8_S8_S8_S8_S8_S8_EEEEZNS1_11reduce_implILb1ES3_PS9_SC_S9_12reduce_tupleIifEEE10hipError_tPvRmT1_T2_T3_mT4_P12ihipStream_tbEUlT_E0_NS1_11comp_targetILNS1_3genE2ELNS1_11target_archE906ELNS1_3gpuE6ELNS1_3repE0EEENS1_30default_config_static_selectorELNS0_4arch9wavefront6targetE0EEEvSI_
	.p2align	8
	.type	_ZN7rocprim17ROCPRIM_400000_NS6detail17trampoline_kernelINS0_14default_configENS1_22reduce_config_selectorIN6thrust23THRUST_200600_302600_NS5tupleIbffNS6_9null_typeES8_S8_S8_S8_S8_S8_EEEEZNS1_11reduce_implILb1ES3_PS9_SC_S9_12reduce_tupleIifEEE10hipError_tPvRmT1_T2_T3_mT4_P12ihipStream_tbEUlT_E0_NS1_11comp_targetILNS1_3genE2ELNS1_11target_archE906ELNS1_3gpuE6ELNS1_3repE0EEENS1_30default_config_static_selectorELNS0_4arch9wavefront6targetE0EEEvSI_,@function
_ZN7rocprim17ROCPRIM_400000_NS6detail17trampoline_kernelINS0_14default_configENS1_22reduce_config_selectorIN6thrust23THRUST_200600_302600_NS5tupleIbffNS6_9null_typeES8_S8_S8_S8_S8_S8_EEEEZNS1_11reduce_implILb1ES3_PS9_SC_S9_12reduce_tupleIifEEE10hipError_tPvRmT1_T2_T3_mT4_P12ihipStream_tbEUlT_E0_NS1_11comp_targetILNS1_3genE2ELNS1_11target_archE906ELNS1_3gpuE6ELNS1_3repE0EEENS1_30default_config_static_selectorELNS0_4arch9wavefront6targetE0EEEvSI_: ; @_ZN7rocprim17ROCPRIM_400000_NS6detail17trampoline_kernelINS0_14default_configENS1_22reduce_config_selectorIN6thrust23THRUST_200600_302600_NS5tupleIbffNS6_9null_typeES8_S8_S8_S8_S8_S8_EEEEZNS1_11reduce_implILb1ES3_PS9_SC_S9_12reduce_tupleIifEEE10hipError_tPvRmT1_T2_T3_mT4_P12ihipStream_tbEUlT_E0_NS1_11comp_targetILNS1_3genE2ELNS1_11target_archE906ELNS1_3gpuE6ELNS1_3repE0EEENS1_30default_config_static_selectorELNS0_4arch9wavefront6targetE0EEEvSI_
; %bb.0:
	.section	.rodata,"a",@progbits
	.p2align	6, 0x0
	.amdhsa_kernel _ZN7rocprim17ROCPRIM_400000_NS6detail17trampoline_kernelINS0_14default_configENS1_22reduce_config_selectorIN6thrust23THRUST_200600_302600_NS5tupleIbffNS6_9null_typeES8_S8_S8_S8_S8_S8_EEEEZNS1_11reduce_implILb1ES3_PS9_SC_S9_12reduce_tupleIifEEE10hipError_tPvRmT1_T2_T3_mT4_P12ihipStream_tbEUlT_E0_NS1_11comp_targetILNS1_3genE2ELNS1_11target_archE906ELNS1_3gpuE6ELNS1_3repE0EEENS1_30default_config_static_selectorELNS0_4arch9wavefront6targetE0EEEvSI_
		.amdhsa_group_segment_fixed_size 0
		.amdhsa_private_segment_fixed_size 0
		.amdhsa_kernarg_size 64
		.amdhsa_user_sgpr_count 2
		.amdhsa_user_sgpr_dispatch_ptr 0
		.amdhsa_user_sgpr_queue_ptr 0
		.amdhsa_user_sgpr_kernarg_segment_ptr 1
		.amdhsa_user_sgpr_dispatch_id 0
		.amdhsa_user_sgpr_kernarg_preload_length 0
		.amdhsa_user_sgpr_kernarg_preload_offset 0
		.amdhsa_user_sgpr_private_segment_size 0
		.amdhsa_wavefront_size32 1
		.amdhsa_uses_dynamic_stack 0
		.amdhsa_enable_private_segment 0
		.amdhsa_system_sgpr_workgroup_id_x 1
		.amdhsa_system_sgpr_workgroup_id_y 0
		.amdhsa_system_sgpr_workgroup_id_z 0
		.amdhsa_system_sgpr_workgroup_info 0
		.amdhsa_system_vgpr_workitem_id 0
		.amdhsa_next_free_vgpr 1
		.amdhsa_next_free_sgpr 1
		.amdhsa_named_barrier_count 0
		.amdhsa_reserve_vcc 0
		.amdhsa_float_round_mode_32 0
		.amdhsa_float_round_mode_16_64 0
		.amdhsa_float_denorm_mode_32 3
		.amdhsa_float_denorm_mode_16_64 3
		.amdhsa_fp16_overflow 0
		.amdhsa_memory_ordered 1
		.amdhsa_forward_progress 1
		.amdhsa_inst_pref_size 0
		.amdhsa_round_robin_scheduling 0
		.amdhsa_exception_fp_ieee_invalid_op 0
		.amdhsa_exception_fp_denorm_src 0
		.amdhsa_exception_fp_ieee_div_zero 0
		.amdhsa_exception_fp_ieee_overflow 0
		.amdhsa_exception_fp_ieee_underflow 0
		.amdhsa_exception_fp_ieee_inexact 0
		.amdhsa_exception_int_div_zero 0
	.end_amdhsa_kernel
	.section	.text._ZN7rocprim17ROCPRIM_400000_NS6detail17trampoline_kernelINS0_14default_configENS1_22reduce_config_selectorIN6thrust23THRUST_200600_302600_NS5tupleIbffNS6_9null_typeES8_S8_S8_S8_S8_S8_EEEEZNS1_11reduce_implILb1ES3_PS9_SC_S9_12reduce_tupleIifEEE10hipError_tPvRmT1_T2_T3_mT4_P12ihipStream_tbEUlT_E0_NS1_11comp_targetILNS1_3genE2ELNS1_11target_archE906ELNS1_3gpuE6ELNS1_3repE0EEENS1_30default_config_static_selectorELNS0_4arch9wavefront6targetE0EEEvSI_,"axG",@progbits,_ZN7rocprim17ROCPRIM_400000_NS6detail17trampoline_kernelINS0_14default_configENS1_22reduce_config_selectorIN6thrust23THRUST_200600_302600_NS5tupleIbffNS6_9null_typeES8_S8_S8_S8_S8_S8_EEEEZNS1_11reduce_implILb1ES3_PS9_SC_S9_12reduce_tupleIifEEE10hipError_tPvRmT1_T2_T3_mT4_P12ihipStream_tbEUlT_E0_NS1_11comp_targetILNS1_3genE2ELNS1_11target_archE906ELNS1_3gpuE6ELNS1_3repE0EEENS1_30default_config_static_selectorELNS0_4arch9wavefront6targetE0EEEvSI_,comdat
.Lfunc_end5:
	.size	_ZN7rocprim17ROCPRIM_400000_NS6detail17trampoline_kernelINS0_14default_configENS1_22reduce_config_selectorIN6thrust23THRUST_200600_302600_NS5tupleIbffNS6_9null_typeES8_S8_S8_S8_S8_S8_EEEEZNS1_11reduce_implILb1ES3_PS9_SC_S9_12reduce_tupleIifEEE10hipError_tPvRmT1_T2_T3_mT4_P12ihipStream_tbEUlT_E0_NS1_11comp_targetILNS1_3genE2ELNS1_11target_archE906ELNS1_3gpuE6ELNS1_3repE0EEENS1_30default_config_static_selectorELNS0_4arch9wavefront6targetE0EEEvSI_, .Lfunc_end5-_ZN7rocprim17ROCPRIM_400000_NS6detail17trampoline_kernelINS0_14default_configENS1_22reduce_config_selectorIN6thrust23THRUST_200600_302600_NS5tupleIbffNS6_9null_typeES8_S8_S8_S8_S8_S8_EEEEZNS1_11reduce_implILb1ES3_PS9_SC_S9_12reduce_tupleIifEEE10hipError_tPvRmT1_T2_T3_mT4_P12ihipStream_tbEUlT_E0_NS1_11comp_targetILNS1_3genE2ELNS1_11target_archE906ELNS1_3gpuE6ELNS1_3repE0EEENS1_30default_config_static_selectorELNS0_4arch9wavefront6targetE0EEEvSI_
                                        ; -- End function
	.set _ZN7rocprim17ROCPRIM_400000_NS6detail17trampoline_kernelINS0_14default_configENS1_22reduce_config_selectorIN6thrust23THRUST_200600_302600_NS5tupleIbffNS6_9null_typeES8_S8_S8_S8_S8_S8_EEEEZNS1_11reduce_implILb1ES3_PS9_SC_S9_12reduce_tupleIifEEE10hipError_tPvRmT1_T2_T3_mT4_P12ihipStream_tbEUlT_E0_NS1_11comp_targetILNS1_3genE2ELNS1_11target_archE906ELNS1_3gpuE6ELNS1_3repE0EEENS1_30default_config_static_selectorELNS0_4arch9wavefront6targetE0EEEvSI_.num_vgpr, 0
	.set _ZN7rocprim17ROCPRIM_400000_NS6detail17trampoline_kernelINS0_14default_configENS1_22reduce_config_selectorIN6thrust23THRUST_200600_302600_NS5tupleIbffNS6_9null_typeES8_S8_S8_S8_S8_S8_EEEEZNS1_11reduce_implILb1ES3_PS9_SC_S9_12reduce_tupleIifEEE10hipError_tPvRmT1_T2_T3_mT4_P12ihipStream_tbEUlT_E0_NS1_11comp_targetILNS1_3genE2ELNS1_11target_archE906ELNS1_3gpuE6ELNS1_3repE0EEENS1_30default_config_static_selectorELNS0_4arch9wavefront6targetE0EEEvSI_.num_agpr, 0
	.set _ZN7rocprim17ROCPRIM_400000_NS6detail17trampoline_kernelINS0_14default_configENS1_22reduce_config_selectorIN6thrust23THRUST_200600_302600_NS5tupleIbffNS6_9null_typeES8_S8_S8_S8_S8_S8_EEEEZNS1_11reduce_implILb1ES3_PS9_SC_S9_12reduce_tupleIifEEE10hipError_tPvRmT1_T2_T3_mT4_P12ihipStream_tbEUlT_E0_NS1_11comp_targetILNS1_3genE2ELNS1_11target_archE906ELNS1_3gpuE6ELNS1_3repE0EEENS1_30default_config_static_selectorELNS0_4arch9wavefront6targetE0EEEvSI_.numbered_sgpr, 0
	.set _ZN7rocprim17ROCPRIM_400000_NS6detail17trampoline_kernelINS0_14default_configENS1_22reduce_config_selectorIN6thrust23THRUST_200600_302600_NS5tupleIbffNS6_9null_typeES8_S8_S8_S8_S8_S8_EEEEZNS1_11reduce_implILb1ES3_PS9_SC_S9_12reduce_tupleIifEEE10hipError_tPvRmT1_T2_T3_mT4_P12ihipStream_tbEUlT_E0_NS1_11comp_targetILNS1_3genE2ELNS1_11target_archE906ELNS1_3gpuE6ELNS1_3repE0EEENS1_30default_config_static_selectorELNS0_4arch9wavefront6targetE0EEEvSI_.num_named_barrier, 0
	.set _ZN7rocprim17ROCPRIM_400000_NS6detail17trampoline_kernelINS0_14default_configENS1_22reduce_config_selectorIN6thrust23THRUST_200600_302600_NS5tupleIbffNS6_9null_typeES8_S8_S8_S8_S8_S8_EEEEZNS1_11reduce_implILb1ES3_PS9_SC_S9_12reduce_tupleIifEEE10hipError_tPvRmT1_T2_T3_mT4_P12ihipStream_tbEUlT_E0_NS1_11comp_targetILNS1_3genE2ELNS1_11target_archE906ELNS1_3gpuE6ELNS1_3repE0EEENS1_30default_config_static_selectorELNS0_4arch9wavefront6targetE0EEEvSI_.private_seg_size, 0
	.set _ZN7rocprim17ROCPRIM_400000_NS6detail17trampoline_kernelINS0_14default_configENS1_22reduce_config_selectorIN6thrust23THRUST_200600_302600_NS5tupleIbffNS6_9null_typeES8_S8_S8_S8_S8_S8_EEEEZNS1_11reduce_implILb1ES3_PS9_SC_S9_12reduce_tupleIifEEE10hipError_tPvRmT1_T2_T3_mT4_P12ihipStream_tbEUlT_E0_NS1_11comp_targetILNS1_3genE2ELNS1_11target_archE906ELNS1_3gpuE6ELNS1_3repE0EEENS1_30default_config_static_selectorELNS0_4arch9wavefront6targetE0EEEvSI_.uses_vcc, 0
	.set _ZN7rocprim17ROCPRIM_400000_NS6detail17trampoline_kernelINS0_14default_configENS1_22reduce_config_selectorIN6thrust23THRUST_200600_302600_NS5tupleIbffNS6_9null_typeES8_S8_S8_S8_S8_S8_EEEEZNS1_11reduce_implILb1ES3_PS9_SC_S9_12reduce_tupleIifEEE10hipError_tPvRmT1_T2_T3_mT4_P12ihipStream_tbEUlT_E0_NS1_11comp_targetILNS1_3genE2ELNS1_11target_archE906ELNS1_3gpuE6ELNS1_3repE0EEENS1_30default_config_static_selectorELNS0_4arch9wavefront6targetE0EEEvSI_.uses_flat_scratch, 0
	.set _ZN7rocprim17ROCPRIM_400000_NS6detail17trampoline_kernelINS0_14default_configENS1_22reduce_config_selectorIN6thrust23THRUST_200600_302600_NS5tupleIbffNS6_9null_typeES8_S8_S8_S8_S8_S8_EEEEZNS1_11reduce_implILb1ES3_PS9_SC_S9_12reduce_tupleIifEEE10hipError_tPvRmT1_T2_T3_mT4_P12ihipStream_tbEUlT_E0_NS1_11comp_targetILNS1_3genE2ELNS1_11target_archE906ELNS1_3gpuE6ELNS1_3repE0EEENS1_30default_config_static_selectorELNS0_4arch9wavefront6targetE0EEEvSI_.has_dyn_sized_stack, 0
	.set _ZN7rocprim17ROCPRIM_400000_NS6detail17trampoline_kernelINS0_14default_configENS1_22reduce_config_selectorIN6thrust23THRUST_200600_302600_NS5tupleIbffNS6_9null_typeES8_S8_S8_S8_S8_S8_EEEEZNS1_11reduce_implILb1ES3_PS9_SC_S9_12reduce_tupleIifEEE10hipError_tPvRmT1_T2_T3_mT4_P12ihipStream_tbEUlT_E0_NS1_11comp_targetILNS1_3genE2ELNS1_11target_archE906ELNS1_3gpuE6ELNS1_3repE0EEENS1_30default_config_static_selectorELNS0_4arch9wavefront6targetE0EEEvSI_.has_recursion, 0
	.set _ZN7rocprim17ROCPRIM_400000_NS6detail17trampoline_kernelINS0_14default_configENS1_22reduce_config_selectorIN6thrust23THRUST_200600_302600_NS5tupleIbffNS6_9null_typeES8_S8_S8_S8_S8_S8_EEEEZNS1_11reduce_implILb1ES3_PS9_SC_S9_12reduce_tupleIifEEE10hipError_tPvRmT1_T2_T3_mT4_P12ihipStream_tbEUlT_E0_NS1_11comp_targetILNS1_3genE2ELNS1_11target_archE906ELNS1_3gpuE6ELNS1_3repE0EEENS1_30default_config_static_selectorELNS0_4arch9wavefront6targetE0EEEvSI_.has_indirect_call, 0
	.section	.AMDGPU.csdata,"",@progbits
; Kernel info:
; codeLenInByte = 0
; TotalNumSgprs: 0
; NumVgprs: 0
; ScratchSize: 0
; MemoryBound: 0
; FloatMode: 240
; IeeeMode: 1
; LDSByteSize: 0 bytes/workgroup (compile time only)
; SGPRBlocks: 0
; VGPRBlocks: 0
; NumSGPRsForWavesPerEU: 1
; NumVGPRsForWavesPerEU: 1
; NamedBarCnt: 0
; Occupancy: 16
; WaveLimiterHint : 0
; COMPUTE_PGM_RSRC2:SCRATCH_EN: 0
; COMPUTE_PGM_RSRC2:USER_SGPR: 2
; COMPUTE_PGM_RSRC2:TRAP_HANDLER: 0
; COMPUTE_PGM_RSRC2:TGID_X_EN: 1
; COMPUTE_PGM_RSRC2:TGID_Y_EN: 0
; COMPUTE_PGM_RSRC2:TGID_Z_EN: 0
; COMPUTE_PGM_RSRC2:TIDIG_COMP_CNT: 0
	.section	.text._ZN7rocprim17ROCPRIM_400000_NS6detail17trampoline_kernelINS0_14default_configENS1_22reduce_config_selectorIN6thrust23THRUST_200600_302600_NS5tupleIbffNS6_9null_typeES8_S8_S8_S8_S8_S8_EEEEZNS1_11reduce_implILb1ES3_PS9_SC_S9_12reduce_tupleIifEEE10hipError_tPvRmT1_T2_T3_mT4_P12ihipStream_tbEUlT_E0_NS1_11comp_targetILNS1_3genE10ELNS1_11target_archE1201ELNS1_3gpuE5ELNS1_3repE0EEENS1_30default_config_static_selectorELNS0_4arch9wavefront6targetE0EEEvSI_,"axG",@progbits,_ZN7rocprim17ROCPRIM_400000_NS6detail17trampoline_kernelINS0_14default_configENS1_22reduce_config_selectorIN6thrust23THRUST_200600_302600_NS5tupleIbffNS6_9null_typeES8_S8_S8_S8_S8_S8_EEEEZNS1_11reduce_implILb1ES3_PS9_SC_S9_12reduce_tupleIifEEE10hipError_tPvRmT1_T2_T3_mT4_P12ihipStream_tbEUlT_E0_NS1_11comp_targetILNS1_3genE10ELNS1_11target_archE1201ELNS1_3gpuE5ELNS1_3repE0EEENS1_30default_config_static_selectorELNS0_4arch9wavefront6targetE0EEEvSI_,comdat
	.protected	_ZN7rocprim17ROCPRIM_400000_NS6detail17trampoline_kernelINS0_14default_configENS1_22reduce_config_selectorIN6thrust23THRUST_200600_302600_NS5tupleIbffNS6_9null_typeES8_S8_S8_S8_S8_S8_EEEEZNS1_11reduce_implILb1ES3_PS9_SC_S9_12reduce_tupleIifEEE10hipError_tPvRmT1_T2_T3_mT4_P12ihipStream_tbEUlT_E0_NS1_11comp_targetILNS1_3genE10ELNS1_11target_archE1201ELNS1_3gpuE5ELNS1_3repE0EEENS1_30default_config_static_selectorELNS0_4arch9wavefront6targetE0EEEvSI_ ; -- Begin function _ZN7rocprim17ROCPRIM_400000_NS6detail17trampoline_kernelINS0_14default_configENS1_22reduce_config_selectorIN6thrust23THRUST_200600_302600_NS5tupleIbffNS6_9null_typeES8_S8_S8_S8_S8_S8_EEEEZNS1_11reduce_implILb1ES3_PS9_SC_S9_12reduce_tupleIifEEE10hipError_tPvRmT1_T2_T3_mT4_P12ihipStream_tbEUlT_E0_NS1_11comp_targetILNS1_3genE10ELNS1_11target_archE1201ELNS1_3gpuE5ELNS1_3repE0EEENS1_30default_config_static_selectorELNS0_4arch9wavefront6targetE0EEEvSI_
	.globl	_ZN7rocprim17ROCPRIM_400000_NS6detail17trampoline_kernelINS0_14default_configENS1_22reduce_config_selectorIN6thrust23THRUST_200600_302600_NS5tupleIbffNS6_9null_typeES8_S8_S8_S8_S8_S8_EEEEZNS1_11reduce_implILb1ES3_PS9_SC_S9_12reduce_tupleIifEEE10hipError_tPvRmT1_T2_T3_mT4_P12ihipStream_tbEUlT_E0_NS1_11comp_targetILNS1_3genE10ELNS1_11target_archE1201ELNS1_3gpuE5ELNS1_3repE0EEENS1_30default_config_static_selectorELNS0_4arch9wavefront6targetE0EEEvSI_
	.p2align	8
	.type	_ZN7rocprim17ROCPRIM_400000_NS6detail17trampoline_kernelINS0_14default_configENS1_22reduce_config_selectorIN6thrust23THRUST_200600_302600_NS5tupleIbffNS6_9null_typeES8_S8_S8_S8_S8_S8_EEEEZNS1_11reduce_implILb1ES3_PS9_SC_S9_12reduce_tupleIifEEE10hipError_tPvRmT1_T2_T3_mT4_P12ihipStream_tbEUlT_E0_NS1_11comp_targetILNS1_3genE10ELNS1_11target_archE1201ELNS1_3gpuE5ELNS1_3repE0EEENS1_30default_config_static_selectorELNS0_4arch9wavefront6targetE0EEEvSI_,@function
_ZN7rocprim17ROCPRIM_400000_NS6detail17trampoline_kernelINS0_14default_configENS1_22reduce_config_selectorIN6thrust23THRUST_200600_302600_NS5tupleIbffNS6_9null_typeES8_S8_S8_S8_S8_S8_EEEEZNS1_11reduce_implILb1ES3_PS9_SC_S9_12reduce_tupleIifEEE10hipError_tPvRmT1_T2_T3_mT4_P12ihipStream_tbEUlT_E0_NS1_11comp_targetILNS1_3genE10ELNS1_11target_archE1201ELNS1_3gpuE5ELNS1_3repE0EEENS1_30default_config_static_selectorELNS0_4arch9wavefront6targetE0EEEvSI_: ; @_ZN7rocprim17ROCPRIM_400000_NS6detail17trampoline_kernelINS0_14default_configENS1_22reduce_config_selectorIN6thrust23THRUST_200600_302600_NS5tupleIbffNS6_9null_typeES8_S8_S8_S8_S8_S8_EEEEZNS1_11reduce_implILb1ES3_PS9_SC_S9_12reduce_tupleIifEEE10hipError_tPvRmT1_T2_T3_mT4_P12ihipStream_tbEUlT_E0_NS1_11comp_targetILNS1_3genE10ELNS1_11target_archE1201ELNS1_3gpuE5ELNS1_3repE0EEENS1_30default_config_static_selectorELNS0_4arch9wavefront6targetE0EEEvSI_
; %bb.0:
	.section	.rodata,"a",@progbits
	.p2align	6, 0x0
	.amdhsa_kernel _ZN7rocprim17ROCPRIM_400000_NS6detail17trampoline_kernelINS0_14default_configENS1_22reduce_config_selectorIN6thrust23THRUST_200600_302600_NS5tupleIbffNS6_9null_typeES8_S8_S8_S8_S8_S8_EEEEZNS1_11reduce_implILb1ES3_PS9_SC_S9_12reduce_tupleIifEEE10hipError_tPvRmT1_T2_T3_mT4_P12ihipStream_tbEUlT_E0_NS1_11comp_targetILNS1_3genE10ELNS1_11target_archE1201ELNS1_3gpuE5ELNS1_3repE0EEENS1_30default_config_static_selectorELNS0_4arch9wavefront6targetE0EEEvSI_
		.amdhsa_group_segment_fixed_size 0
		.amdhsa_private_segment_fixed_size 0
		.amdhsa_kernarg_size 64
		.amdhsa_user_sgpr_count 2
		.amdhsa_user_sgpr_dispatch_ptr 0
		.amdhsa_user_sgpr_queue_ptr 0
		.amdhsa_user_sgpr_kernarg_segment_ptr 1
		.amdhsa_user_sgpr_dispatch_id 0
		.amdhsa_user_sgpr_kernarg_preload_length 0
		.amdhsa_user_sgpr_kernarg_preload_offset 0
		.amdhsa_user_sgpr_private_segment_size 0
		.amdhsa_wavefront_size32 1
		.amdhsa_uses_dynamic_stack 0
		.amdhsa_enable_private_segment 0
		.amdhsa_system_sgpr_workgroup_id_x 1
		.amdhsa_system_sgpr_workgroup_id_y 0
		.amdhsa_system_sgpr_workgroup_id_z 0
		.amdhsa_system_sgpr_workgroup_info 0
		.amdhsa_system_vgpr_workitem_id 0
		.amdhsa_next_free_vgpr 1
		.amdhsa_next_free_sgpr 1
		.amdhsa_named_barrier_count 0
		.amdhsa_reserve_vcc 0
		.amdhsa_float_round_mode_32 0
		.amdhsa_float_round_mode_16_64 0
		.amdhsa_float_denorm_mode_32 3
		.amdhsa_float_denorm_mode_16_64 3
		.amdhsa_fp16_overflow 0
		.amdhsa_memory_ordered 1
		.amdhsa_forward_progress 1
		.amdhsa_inst_pref_size 0
		.amdhsa_round_robin_scheduling 0
		.amdhsa_exception_fp_ieee_invalid_op 0
		.amdhsa_exception_fp_denorm_src 0
		.amdhsa_exception_fp_ieee_div_zero 0
		.amdhsa_exception_fp_ieee_overflow 0
		.amdhsa_exception_fp_ieee_underflow 0
		.amdhsa_exception_fp_ieee_inexact 0
		.amdhsa_exception_int_div_zero 0
	.end_amdhsa_kernel
	.section	.text._ZN7rocprim17ROCPRIM_400000_NS6detail17trampoline_kernelINS0_14default_configENS1_22reduce_config_selectorIN6thrust23THRUST_200600_302600_NS5tupleIbffNS6_9null_typeES8_S8_S8_S8_S8_S8_EEEEZNS1_11reduce_implILb1ES3_PS9_SC_S9_12reduce_tupleIifEEE10hipError_tPvRmT1_T2_T3_mT4_P12ihipStream_tbEUlT_E0_NS1_11comp_targetILNS1_3genE10ELNS1_11target_archE1201ELNS1_3gpuE5ELNS1_3repE0EEENS1_30default_config_static_selectorELNS0_4arch9wavefront6targetE0EEEvSI_,"axG",@progbits,_ZN7rocprim17ROCPRIM_400000_NS6detail17trampoline_kernelINS0_14default_configENS1_22reduce_config_selectorIN6thrust23THRUST_200600_302600_NS5tupleIbffNS6_9null_typeES8_S8_S8_S8_S8_S8_EEEEZNS1_11reduce_implILb1ES3_PS9_SC_S9_12reduce_tupleIifEEE10hipError_tPvRmT1_T2_T3_mT4_P12ihipStream_tbEUlT_E0_NS1_11comp_targetILNS1_3genE10ELNS1_11target_archE1201ELNS1_3gpuE5ELNS1_3repE0EEENS1_30default_config_static_selectorELNS0_4arch9wavefront6targetE0EEEvSI_,comdat
.Lfunc_end6:
	.size	_ZN7rocprim17ROCPRIM_400000_NS6detail17trampoline_kernelINS0_14default_configENS1_22reduce_config_selectorIN6thrust23THRUST_200600_302600_NS5tupleIbffNS6_9null_typeES8_S8_S8_S8_S8_S8_EEEEZNS1_11reduce_implILb1ES3_PS9_SC_S9_12reduce_tupleIifEEE10hipError_tPvRmT1_T2_T3_mT4_P12ihipStream_tbEUlT_E0_NS1_11comp_targetILNS1_3genE10ELNS1_11target_archE1201ELNS1_3gpuE5ELNS1_3repE0EEENS1_30default_config_static_selectorELNS0_4arch9wavefront6targetE0EEEvSI_, .Lfunc_end6-_ZN7rocprim17ROCPRIM_400000_NS6detail17trampoline_kernelINS0_14default_configENS1_22reduce_config_selectorIN6thrust23THRUST_200600_302600_NS5tupleIbffNS6_9null_typeES8_S8_S8_S8_S8_S8_EEEEZNS1_11reduce_implILb1ES3_PS9_SC_S9_12reduce_tupleIifEEE10hipError_tPvRmT1_T2_T3_mT4_P12ihipStream_tbEUlT_E0_NS1_11comp_targetILNS1_3genE10ELNS1_11target_archE1201ELNS1_3gpuE5ELNS1_3repE0EEENS1_30default_config_static_selectorELNS0_4arch9wavefront6targetE0EEEvSI_
                                        ; -- End function
	.set _ZN7rocprim17ROCPRIM_400000_NS6detail17trampoline_kernelINS0_14default_configENS1_22reduce_config_selectorIN6thrust23THRUST_200600_302600_NS5tupleIbffNS6_9null_typeES8_S8_S8_S8_S8_S8_EEEEZNS1_11reduce_implILb1ES3_PS9_SC_S9_12reduce_tupleIifEEE10hipError_tPvRmT1_T2_T3_mT4_P12ihipStream_tbEUlT_E0_NS1_11comp_targetILNS1_3genE10ELNS1_11target_archE1201ELNS1_3gpuE5ELNS1_3repE0EEENS1_30default_config_static_selectorELNS0_4arch9wavefront6targetE0EEEvSI_.num_vgpr, 0
	.set _ZN7rocprim17ROCPRIM_400000_NS6detail17trampoline_kernelINS0_14default_configENS1_22reduce_config_selectorIN6thrust23THRUST_200600_302600_NS5tupleIbffNS6_9null_typeES8_S8_S8_S8_S8_S8_EEEEZNS1_11reduce_implILb1ES3_PS9_SC_S9_12reduce_tupleIifEEE10hipError_tPvRmT1_T2_T3_mT4_P12ihipStream_tbEUlT_E0_NS1_11comp_targetILNS1_3genE10ELNS1_11target_archE1201ELNS1_3gpuE5ELNS1_3repE0EEENS1_30default_config_static_selectorELNS0_4arch9wavefront6targetE0EEEvSI_.num_agpr, 0
	.set _ZN7rocprim17ROCPRIM_400000_NS6detail17trampoline_kernelINS0_14default_configENS1_22reduce_config_selectorIN6thrust23THRUST_200600_302600_NS5tupleIbffNS6_9null_typeES8_S8_S8_S8_S8_S8_EEEEZNS1_11reduce_implILb1ES3_PS9_SC_S9_12reduce_tupleIifEEE10hipError_tPvRmT1_T2_T3_mT4_P12ihipStream_tbEUlT_E0_NS1_11comp_targetILNS1_3genE10ELNS1_11target_archE1201ELNS1_3gpuE5ELNS1_3repE0EEENS1_30default_config_static_selectorELNS0_4arch9wavefront6targetE0EEEvSI_.numbered_sgpr, 0
	.set _ZN7rocprim17ROCPRIM_400000_NS6detail17trampoline_kernelINS0_14default_configENS1_22reduce_config_selectorIN6thrust23THRUST_200600_302600_NS5tupleIbffNS6_9null_typeES8_S8_S8_S8_S8_S8_EEEEZNS1_11reduce_implILb1ES3_PS9_SC_S9_12reduce_tupleIifEEE10hipError_tPvRmT1_T2_T3_mT4_P12ihipStream_tbEUlT_E0_NS1_11comp_targetILNS1_3genE10ELNS1_11target_archE1201ELNS1_3gpuE5ELNS1_3repE0EEENS1_30default_config_static_selectorELNS0_4arch9wavefront6targetE0EEEvSI_.num_named_barrier, 0
	.set _ZN7rocprim17ROCPRIM_400000_NS6detail17trampoline_kernelINS0_14default_configENS1_22reduce_config_selectorIN6thrust23THRUST_200600_302600_NS5tupleIbffNS6_9null_typeES8_S8_S8_S8_S8_S8_EEEEZNS1_11reduce_implILb1ES3_PS9_SC_S9_12reduce_tupleIifEEE10hipError_tPvRmT1_T2_T3_mT4_P12ihipStream_tbEUlT_E0_NS1_11comp_targetILNS1_3genE10ELNS1_11target_archE1201ELNS1_3gpuE5ELNS1_3repE0EEENS1_30default_config_static_selectorELNS0_4arch9wavefront6targetE0EEEvSI_.private_seg_size, 0
	.set _ZN7rocprim17ROCPRIM_400000_NS6detail17trampoline_kernelINS0_14default_configENS1_22reduce_config_selectorIN6thrust23THRUST_200600_302600_NS5tupleIbffNS6_9null_typeES8_S8_S8_S8_S8_S8_EEEEZNS1_11reduce_implILb1ES3_PS9_SC_S9_12reduce_tupleIifEEE10hipError_tPvRmT1_T2_T3_mT4_P12ihipStream_tbEUlT_E0_NS1_11comp_targetILNS1_3genE10ELNS1_11target_archE1201ELNS1_3gpuE5ELNS1_3repE0EEENS1_30default_config_static_selectorELNS0_4arch9wavefront6targetE0EEEvSI_.uses_vcc, 0
	.set _ZN7rocprim17ROCPRIM_400000_NS6detail17trampoline_kernelINS0_14default_configENS1_22reduce_config_selectorIN6thrust23THRUST_200600_302600_NS5tupleIbffNS6_9null_typeES8_S8_S8_S8_S8_S8_EEEEZNS1_11reduce_implILb1ES3_PS9_SC_S9_12reduce_tupleIifEEE10hipError_tPvRmT1_T2_T3_mT4_P12ihipStream_tbEUlT_E0_NS1_11comp_targetILNS1_3genE10ELNS1_11target_archE1201ELNS1_3gpuE5ELNS1_3repE0EEENS1_30default_config_static_selectorELNS0_4arch9wavefront6targetE0EEEvSI_.uses_flat_scratch, 0
	.set _ZN7rocprim17ROCPRIM_400000_NS6detail17trampoline_kernelINS0_14default_configENS1_22reduce_config_selectorIN6thrust23THRUST_200600_302600_NS5tupleIbffNS6_9null_typeES8_S8_S8_S8_S8_S8_EEEEZNS1_11reduce_implILb1ES3_PS9_SC_S9_12reduce_tupleIifEEE10hipError_tPvRmT1_T2_T3_mT4_P12ihipStream_tbEUlT_E0_NS1_11comp_targetILNS1_3genE10ELNS1_11target_archE1201ELNS1_3gpuE5ELNS1_3repE0EEENS1_30default_config_static_selectorELNS0_4arch9wavefront6targetE0EEEvSI_.has_dyn_sized_stack, 0
	.set _ZN7rocprim17ROCPRIM_400000_NS6detail17trampoline_kernelINS0_14default_configENS1_22reduce_config_selectorIN6thrust23THRUST_200600_302600_NS5tupleIbffNS6_9null_typeES8_S8_S8_S8_S8_S8_EEEEZNS1_11reduce_implILb1ES3_PS9_SC_S9_12reduce_tupleIifEEE10hipError_tPvRmT1_T2_T3_mT4_P12ihipStream_tbEUlT_E0_NS1_11comp_targetILNS1_3genE10ELNS1_11target_archE1201ELNS1_3gpuE5ELNS1_3repE0EEENS1_30default_config_static_selectorELNS0_4arch9wavefront6targetE0EEEvSI_.has_recursion, 0
	.set _ZN7rocprim17ROCPRIM_400000_NS6detail17trampoline_kernelINS0_14default_configENS1_22reduce_config_selectorIN6thrust23THRUST_200600_302600_NS5tupleIbffNS6_9null_typeES8_S8_S8_S8_S8_S8_EEEEZNS1_11reduce_implILb1ES3_PS9_SC_S9_12reduce_tupleIifEEE10hipError_tPvRmT1_T2_T3_mT4_P12ihipStream_tbEUlT_E0_NS1_11comp_targetILNS1_3genE10ELNS1_11target_archE1201ELNS1_3gpuE5ELNS1_3repE0EEENS1_30default_config_static_selectorELNS0_4arch9wavefront6targetE0EEEvSI_.has_indirect_call, 0
	.section	.AMDGPU.csdata,"",@progbits
; Kernel info:
; codeLenInByte = 0
; TotalNumSgprs: 0
; NumVgprs: 0
; ScratchSize: 0
; MemoryBound: 0
; FloatMode: 240
; IeeeMode: 1
; LDSByteSize: 0 bytes/workgroup (compile time only)
; SGPRBlocks: 0
; VGPRBlocks: 0
; NumSGPRsForWavesPerEU: 1
; NumVGPRsForWavesPerEU: 1
; NamedBarCnt: 0
; Occupancy: 16
; WaveLimiterHint : 0
; COMPUTE_PGM_RSRC2:SCRATCH_EN: 0
; COMPUTE_PGM_RSRC2:USER_SGPR: 2
; COMPUTE_PGM_RSRC2:TRAP_HANDLER: 0
; COMPUTE_PGM_RSRC2:TGID_X_EN: 1
; COMPUTE_PGM_RSRC2:TGID_Y_EN: 0
; COMPUTE_PGM_RSRC2:TGID_Z_EN: 0
; COMPUTE_PGM_RSRC2:TIDIG_COMP_CNT: 0
	.section	.text._ZN7rocprim17ROCPRIM_400000_NS6detail17trampoline_kernelINS0_14default_configENS1_22reduce_config_selectorIN6thrust23THRUST_200600_302600_NS5tupleIbffNS6_9null_typeES8_S8_S8_S8_S8_S8_EEEEZNS1_11reduce_implILb1ES3_PS9_SC_S9_12reduce_tupleIifEEE10hipError_tPvRmT1_T2_T3_mT4_P12ihipStream_tbEUlT_E0_NS1_11comp_targetILNS1_3genE10ELNS1_11target_archE1200ELNS1_3gpuE4ELNS1_3repE0EEENS1_30default_config_static_selectorELNS0_4arch9wavefront6targetE0EEEvSI_,"axG",@progbits,_ZN7rocprim17ROCPRIM_400000_NS6detail17trampoline_kernelINS0_14default_configENS1_22reduce_config_selectorIN6thrust23THRUST_200600_302600_NS5tupleIbffNS6_9null_typeES8_S8_S8_S8_S8_S8_EEEEZNS1_11reduce_implILb1ES3_PS9_SC_S9_12reduce_tupleIifEEE10hipError_tPvRmT1_T2_T3_mT4_P12ihipStream_tbEUlT_E0_NS1_11comp_targetILNS1_3genE10ELNS1_11target_archE1200ELNS1_3gpuE4ELNS1_3repE0EEENS1_30default_config_static_selectorELNS0_4arch9wavefront6targetE0EEEvSI_,comdat
	.protected	_ZN7rocprim17ROCPRIM_400000_NS6detail17trampoline_kernelINS0_14default_configENS1_22reduce_config_selectorIN6thrust23THRUST_200600_302600_NS5tupleIbffNS6_9null_typeES8_S8_S8_S8_S8_S8_EEEEZNS1_11reduce_implILb1ES3_PS9_SC_S9_12reduce_tupleIifEEE10hipError_tPvRmT1_T2_T3_mT4_P12ihipStream_tbEUlT_E0_NS1_11comp_targetILNS1_3genE10ELNS1_11target_archE1200ELNS1_3gpuE4ELNS1_3repE0EEENS1_30default_config_static_selectorELNS0_4arch9wavefront6targetE0EEEvSI_ ; -- Begin function _ZN7rocprim17ROCPRIM_400000_NS6detail17trampoline_kernelINS0_14default_configENS1_22reduce_config_selectorIN6thrust23THRUST_200600_302600_NS5tupleIbffNS6_9null_typeES8_S8_S8_S8_S8_S8_EEEEZNS1_11reduce_implILb1ES3_PS9_SC_S9_12reduce_tupleIifEEE10hipError_tPvRmT1_T2_T3_mT4_P12ihipStream_tbEUlT_E0_NS1_11comp_targetILNS1_3genE10ELNS1_11target_archE1200ELNS1_3gpuE4ELNS1_3repE0EEENS1_30default_config_static_selectorELNS0_4arch9wavefront6targetE0EEEvSI_
	.globl	_ZN7rocprim17ROCPRIM_400000_NS6detail17trampoline_kernelINS0_14default_configENS1_22reduce_config_selectorIN6thrust23THRUST_200600_302600_NS5tupleIbffNS6_9null_typeES8_S8_S8_S8_S8_S8_EEEEZNS1_11reduce_implILb1ES3_PS9_SC_S9_12reduce_tupleIifEEE10hipError_tPvRmT1_T2_T3_mT4_P12ihipStream_tbEUlT_E0_NS1_11comp_targetILNS1_3genE10ELNS1_11target_archE1200ELNS1_3gpuE4ELNS1_3repE0EEENS1_30default_config_static_selectorELNS0_4arch9wavefront6targetE0EEEvSI_
	.p2align	8
	.type	_ZN7rocprim17ROCPRIM_400000_NS6detail17trampoline_kernelINS0_14default_configENS1_22reduce_config_selectorIN6thrust23THRUST_200600_302600_NS5tupleIbffNS6_9null_typeES8_S8_S8_S8_S8_S8_EEEEZNS1_11reduce_implILb1ES3_PS9_SC_S9_12reduce_tupleIifEEE10hipError_tPvRmT1_T2_T3_mT4_P12ihipStream_tbEUlT_E0_NS1_11comp_targetILNS1_3genE10ELNS1_11target_archE1200ELNS1_3gpuE4ELNS1_3repE0EEENS1_30default_config_static_selectorELNS0_4arch9wavefront6targetE0EEEvSI_,@function
_ZN7rocprim17ROCPRIM_400000_NS6detail17trampoline_kernelINS0_14default_configENS1_22reduce_config_selectorIN6thrust23THRUST_200600_302600_NS5tupleIbffNS6_9null_typeES8_S8_S8_S8_S8_S8_EEEEZNS1_11reduce_implILb1ES3_PS9_SC_S9_12reduce_tupleIifEEE10hipError_tPvRmT1_T2_T3_mT4_P12ihipStream_tbEUlT_E0_NS1_11comp_targetILNS1_3genE10ELNS1_11target_archE1200ELNS1_3gpuE4ELNS1_3repE0EEENS1_30default_config_static_selectorELNS0_4arch9wavefront6targetE0EEEvSI_: ; @_ZN7rocprim17ROCPRIM_400000_NS6detail17trampoline_kernelINS0_14default_configENS1_22reduce_config_selectorIN6thrust23THRUST_200600_302600_NS5tupleIbffNS6_9null_typeES8_S8_S8_S8_S8_S8_EEEEZNS1_11reduce_implILb1ES3_PS9_SC_S9_12reduce_tupleIifEEE10hipError_tPvRmT1_T2_T3_mT4_P12ihipStream_tbEUlT_E0_NS1_11comp_targetILNS1_3genE10ELNS1_11target_archE1200ELNS1_3gpuE4ELNS1_3repE0EEENS1_30default_config_static_selectorELNS0_4arch9wavefront6targetE0EEEvSI_
; %bb.0:
	.section	.rodata,"a",@progbits
	.p2align	6, 0x0
	.amdhsa_kernel _ZN7rocprim17ROCPRIM_400000_NS6detail17trampoline_kernelINS0_14default_configENS1_22reduce_config_selectorIN6thrust23THRUST_200600_302600_NS5tupleIbffNS6_9null_typeES8_S8_S8_S8_S8_S8_EEEEZNS1_11reduce_implILb1ES3_PS9_SC_S9_12reduce_tupleIifEEE10hipError_tPvRmT1_T2_T3_mT4_P12ihipStream_tbEUlT_E0_NS1_11comp_targetILNS1_3genE10ELNS1_11target_archE1200ELNS1_3gpuE4ELNS1_3repE0EEENS1_30default_config_static_selectorELNS0_4arch9wavefront6targetE0EEEvSI_
		.amdhsa_group_segment_fixed_size 0
		.amdhsa_private_segment_fixed_size 0
		.amdhsa_kernarg_size 64
		.amdhsa_user_sgpr_count 2
		.amdhsa_user_sgpr_dispatch_ptr 0
		.amdhsa_user_sgpr_queue_ptr 0
		.amdhsa_user_sgpr_kernarg_segment_ptr 1
		.amdhsa_user_sgpr_dispatch_id 0
		.amdhsa_user_sgpr_kernarg_preload_length 0
		.amdhsa_user_sgpr_kernarg_preload_offset 0
		.amdhsa_user_sgpr_private_segment_size 0
		.amdhsa_wavefront_size32 1
		.amdhsa_uses_dynamic_stack 0
		.amdhsa_enable_private_segment 0
		.amdhsa_system_sgpr_workgroup_id_x 1
		.amdhsa_system_sgpr_workgroup_id_y 0
		.amdhsa_system_sgpr_workgroup_id_z 0
		.amdhsa_system_sgpr_workgroup_info 0
		.amdhsa_system_vgpr_workitem_id 0
		.amdhsa_next_free_vgpr 1
		.amdhsa_next_free_sgpr 1
		.amdhsa_named_barrier_count 0
		.amdhsa_reserve_vcc 0
		.amdhsa_float_round_mode_32 0
		.amdhsa_float_round_mode_16_64 0
		.amdhsa_float_denorm_mode_32 3
		.amdhsa_float_denorm_mode_16_64 3
		.amdhsa_fp16_overflow 0
		.amdhsa_memory_ordered 1
		.amdhsa_forward_progress 1
		.amdhsa_inst_pref_size 0
		.amdhsa_round_robin_scheduling 0
		.amdhsa_exception_fp_ieee_invalid_op 0
		.amdhsa_exception_fp_denorm_src 0
		.amdhsa_exception_fp_ieee_div_zero 0
		.amdhsa_exception_fp_ieee_overflow 0
		.amdhsa_exception_fp_ieee_underflow 0
		.amdhsa_exception_fp_ieee_inexact 0
		.amdhsa_exception_int_div_zero 0
	.end_amdhsa_kernel
	.section	.text._ZN7rocprim17ROCPRIM_400000_NS6detail17trampoline_kernelINS0_14default_configENS1_22reduce_config_selectorIN6thrust23THRUST_200600_302600_NS5tupleIbffNS6_9null_typeES8_S8_S8_S8_S8_S8_EEEEZNS1_11reduce_implILb1ES3_PS9_SC_S9_12reduce_tupleIifEEE10hipError_tPvRmT1_T2_T3_mT4_P12ihipStream_tbEUlT_E0_NS1_11comp_targetILNS1_3genE10ELNS1_11target_archE1200ELNS1_3gpuE4ELNS1_3repE0EEENS1_30default_config_static_selectorELNS0_4arch9wavefront6targetE0EEEvSI_,"axG",@progbits,_ZN7rocprim17ROCPRIM_400000_NS6detail17trampoline_kernelINS0_14default_configENS1_22reduce_config_selectorIN6thrust23THRUST_200600_302600_NS5tupleIbffNS6_9null_typeES8_S8_S8_S8_S8_S8_EEEEZNS1_11reduce_implILb1ES3_PS9_SC_S9_12reduce_tupleIifEEE10hipError_tPvRmT1_T2_T3_mT4_P12ihipStream_tbEUlT_E0_NS1_11comp_targetILNS1_3genE10ELNS1_11target_archE1200ELNS1_3gpuE4ELNS1_3repE0EEENS1_30default_config_static_selectorELNS0_4arch9wavefront6targetE0EEEvSI_,comdat
.Lfunc_end7:
	.size	_ZN7rocprim17ROCPRIM_400000_NS6detail17trampoline_kernelINS0_14default_configENS1_22reduce_config_selectorIN6thrust23THRUST_200600_302600_NS5tupleIbffNS6_9null_typeES8_S8_S8_S8_S8_S8_EEEEZNS1_11reduce_implILb1ES3_PS9_SC_S9_12reduce_tupleIifEEE10hipError_tPvRmT1_T2_T3_mT4_P12ihipStream_tbEUlT_E0_NS1_11comp_targetILNS1_3genE10ELNS1_11target_archE1200ELNS1_3gpuE4ELNS1_3repE0EEENS1_30default_config_static_selectorELNS0_4arch9wavefront6targetE0EEEvSI_, .Lfunc_end7-_ZN7rocprim17ROCPRIM_400000_NS6detail17trampoline_kernelINS0_14default_configENS1_22reduce_config_selectorIN6thrust23THRUST_200600_302600_NS5tupleIbffNS6_9null_typeES8_S8_S8_S8_S8_S8_EEEEZNS1_11reduce_implILb1ES3_PS9_SC_S9_12reduce_tupleIifEEE10hipError_tPvRmT1_T2_T3_mT4_P12ihipStream_tbEUlT_E0_NS1_11comp_targetILNS1_3genE10ELNS1_11target_archE1200ELNS1_3gpuE4ELNS1_3repE0EEENS1_30default_config_static_selectorELNS0_4arch9wavefront6targetE0EEEvSI_
                                        ; -- End function
	.set _ZN7rocprim17ROCPRIM_400000_NS6detail17trampoline_kernelINS0_14default_configENS1_22reduce_config_selectorIN6thrust23THRUST_200600_302600_NS5tupleIbffNS6_9null_typeES8_S8_S8_S8_S8_S8_EEEEZNS1_11reduce_implILb1ES3_PS9_SC_S9_12reduce_tupleIifEEE10hipError_tPvRmT1_T2_T3_mT4_P12ihipStream_tbEUlT_E0_NS1_11comp_targetILNS1_3genE10ELNS1_11target_archE1200ELNS1_3gpuE4ELNS1_3repE0EEENS1_30default_config_static_selectorELNS0_4arch9wavefront6targetE0EEEvSI_.num_vgpr, 0
	.set _ZN7rocprim17ROCPRIM_400000_NS6detail17trampoline_kernelINS0_14default_configENS1_22reduce_config_selectorIN6thrust23THRUST_200600_302600_NS5tupleIbffNS6_9null_typeES8_S8_S8_S8_S8_S8_EEEEZNS1_11reduce_implILb1ES3_PS9_SC_S9_12reduce_tupleIifEEE10hipError_tPvRmT1_T2_T3_mT4_P12ihipStream_tbEUlT_E0_NS1_11comp_targetILNS1_3genE10ELNS1_11target_archE1200ELNS1_3gpuE4ELNS1_3repE0EEENS1_30default_config_static_selectorELNS0_4arch9wavefront6targetE0EEEvSI_.num_agpr, 0
	.set _ZN7rocprim17ROCPRIM_400000_NS6detail17trampoline_kernelINS0_14default_configENS1_22reduce_config_selectorIN6thrust23THRUST_200600_302600_NS5tupleIbffNS6_9null_typeES8_S8_S8_S8_S8_S8_EEEEZNS1_11reduce_implILb1ES3_PS9_SC_S9_12reduce_tupleIifEEE10hipError_tPvRmT1_T2_T3_mT4_P12ihipStream_tbEUlT_E0_NS1_11comp_targetILNS1_3genE10ELNS1_11target_archE1200ELNS1_3gpuE4ELNS1_3repE0EEENS1_30default_config_static_selectorELNS0_4arch9wavefront6targetE0EEEvSI_.numbered_sgpr, 0
	.set _ZN7rocprim17ROCPRIM_400000_NS6detail17trampoline_kernelINS0_14default_configENS1_22reduce_config_selectorIN6thrust23THRUST_200600_302600_NS5tupleIbffNS6_9null_typeES8_S8_S8_S8_S8_S8_EEEEZNS1_11reduce_implILb1ES3_PS9_SC_S9_12reduce_tupleIifEEE10hipError_tPvRmT1_T2_T3_mT4_P12ihipStream_tbEUlT_E0_NS1_11comp_targetILNS1_3genE10ELNS1_11target_archE1200ELNS1_3gpuE4ELNS1_3repE0EEENS1_30default_config_static_selectorELNS0_4arch9wavefront6targetE0EEEvSI_.num_named_barrier, 0
	.set _ZN7rocprim17ROCPRIM_400000_NS6detail17trampoline_kernelINS0_14default_configENS1_22reduce_config_selectorIN6thrust23THRUST_200600_302600_NS5tupleIbffNS6_9null_typeES8_S8_S8_S8_S8_S8_EEEEZNS1_11reduce_implILb1ES3_PS9_SC_S9_12reduce_tupleIifEEE10hipError_tPvRmT1_T2_T3_mT4_P12ihipStream_tbEUlT_E0_NS1_11comp_targetILNS1_3genE10ELNS1_11target_archE1200ELNS1_3gpuE4ELNS1_3repE0EEENS1_30default_config_static_selectorELNS0_4arch9wavefront6targetE0EEEvSI_.private_seg_size, 0
	.set _ZN7rocprim17ROCPRIM_400000_NS6detail17trampoline_kernelINS0_14default_configENS1_22reduce_config_selectorIN6thrust23THRUST_200600_302600_NS5tupleIbffNS6_9null_typeES8_S8_S8_S8_S8_S8_EEEEZNS1_11reduce_implILb1ES3_PS9_SC_S9_12reduce_tupleIifEEE10hipError_tPvRmT1_T2_T3_mT4_P12ihipStream_tbEUlT_E0_NS1_11comp_targetILNS1_3genE10ELNS1_11target_archE1200ELNS1_3gpuE4ELNS1_3repE0EEENS1_30default_config_static_selectorELNS0_4arch9wavefront6targetE0EEEvSI_.uses_vcc, 0
	.set _ZN7rocprim17ROCPRIM_400000_NS6detail17trampoline_kernelINS0_14default_configENS1_22reduce_config_selectorIN6thrust23THRUST_200600_302600_NS5tupleIbffNS6_9null_typeES8_S8_S8_S8_S8_S8_EEEEZNS1_11reduce_implILb1ES3_PS9_SC_S9_12reduce_tupleIifEEE10hipError_tPvRmT1_T2_T3_mT4_P12ihipStream_tbEUlT_E0_NS1_11comp_targetILNS1_3genE10ELNS1_11target_archE1200ELNS1_3gpuE4ELNS1_3repE0EEENS1_30default_config_static_selectorELNS0_4arch9wavefront6targetE0EEEvSI_.uses_flat_scratch, 0
	.set _ZN7rocprim17ROCPRIM_400000_NS6detail17trampoline_kernelINS0_14default_configENS1_22reduce_config_selectorIN6thrust23THRUST_200600_302600_NS5tupleIbffNS6_9null_typeES8_S8_S8_S8_S8_S8_EEEEZNS1_11reduce_implILb1ES3_PS9_SC_S9_12reduce_tupleIifEEE10hipError_tPvRmT1_T2_T3_mT4_P12ihipStream_tbEUlT_E0_NS1_11comp_targetILNS1_3genE10ELNS1_11target_archE1200ELNS1_3gpuE4ELNS1_3repE0EEENS1_30default_config_static_selectorELNS0_4arch9wavefront6targetE0EEEvSI_.has_dyn_sized_stack, 0
	.set _ZN7rocprim17ROCPRIM_400000_NS6detail17trampoline_kernelINS0_14default_configENS1_22reduce_config_selectorIN6thrust23THRUST_200600_302600_NS5tupleIbffNS6_9null_typeES8_S8_S8_S8_S8_S8_EEEEZNS1_11reduce_implILb1ES3_PS9_SC_S9_12reduce_tupleIifEEE10hipError_tPvRmT1_T2_T3_mT4_P12ihipStream_tbEUlT_E0_NS1_11comp_targetILNS1_3genE10ELNS1_11target_archE1200ELNS1_3gpuE4ELNS1_3repE0EEENS1_30default_config_static_selectorELNS0_4arch9wavefront6targetE0EEEvSI_.has_recursion, 0
	.set _ZN7rocprim17ROCPRIM_400000_NS6detail17trampoline_kernelINS0_14default_configENS1_22reduce_config_selectorIN6thrust23THRUST_200600_302600_NS5tupleIbffNS6_9null_typeES8_S8_S8_S8_S8_S8_EEEEZNS1_11reduce_implILb1ES3_PS9_SC_S9_12reduce_tupleIifEEE10hipError_tPvRmT1_T2_T3_mT4_P12ihipStream_tbEUlT_E0_NS1_11comp_targetILNS1_3genE10ELNS1_11target_archE1200ELNS1_3gpuE4ELNS1_3repE0EEENS1_30default_config_static_selectorELNS0_4arch9wavefront6targetE0EEEvSI_.has_indirect_call, 0
	.section	.AMDGPU.csdata,"",@progbits
; Kernel info:
; codeLenInByte = 0
; TotalNumSgprs: 0
; NumVgprs: 0
; ScratchSize: 0
; MemoryBound: 0
; FloatMode: 240
; IeeeMode: 1
; LDSByteSize: 0 bytes/workgroup (compile time only)
; SGPRBlocks: 0
; VGPRBlocks: 0
; NumSGPRsForWavesPerEU: 1
; NumVGPRsForWavesPerEU: 1
; NamedBarCnt: 0
; Occupancy: 16
; WaveLimiterHint : 0
; COMPUTE_PGM_RSRC2:SCRATCH_EN: 0
; COMPUTE_PGM_RSRC2:USER_SGPR: 2
; COMPUTE_PGM_RSRC2:TRAP_HANDLER: 0
; COMPUTE_PGM_RSRC2:TGID_X_EN: 1
; COMPUTE_PGM_RSRC2:TGID_Y_EN: 0
; COMPUTE_PGM_RSRC2:TGID_Z_EN: 0
; COMPUTE_PGM_RSRC2:TIDIG_COMP_CNT: 0
	.section	.text._ZN7rocprim17ROCPRIM_400000_NS6detail17trampoline_kernelINS0_14default_configENS1_22reduce_config_selectorIN6thrust23THRUST_200600_302600_NS5tupleIbffNS6_9null_typeES8_S8_S8_S8_S8_S8_EEEEZNS1_11reduce_implILb1ES3_PS9_SC_S9_12reduce_tupleIifEEE10hipError_tPvRmT1_T2_T3_mT4_P12ihipStream_tbEUlT_E0_NS1_11comp_targetILNS1_3genE9ELNS1_11target_archE1100ELNS1_3gpuE3ELNS1_3repE0EEENS1_30default_config_static_selectorELNS0_4arch9wavefront6targetE0EEEvSI_,"axG",@progbits,_ZN7rocprim17ROCPRIM_400000_NS6detail17trampoline_kernelINS0_14default_configENS1_22reduce_config_selectorIN6thrust23THRUST_200600_302600_NS5tupleIbffNS6_9null_typeES8_S8_S8_S8_S8_S8_EEEEZNS1_11reduce_implILb1ES3_PS9_SC_S9_12reduce_tupleIifEEE10hipError_tPvRmT1_T2_T3_mT4_P12ihipStream_tbEUlT_E0_NS1_11comp_targetILNS1_3genE9ELNS1_11target_archE1100ELNS1_3gpuE3ELNS1_3repE0EEENS1_30default_config_static_selectorELNS0_4arch9wavefront6targetE0EEEvSI_,comdat
	.protected	_ZN7rocprim17ROCPRIM_400000_NS6detail17trampoline_kernelINS0_14default_configENS1_22reduce_config_selectorIN6thrust23THRUST_200600_302600_NS5tupleIbffNS6_9null_typeES8_S8_S8_S8_S8_S8_EEEEZNS1_11reduce_implILb1ES3_PS9_SC_S9_12reduce_tupleIifEEE10hipError_tPvRmT1_T2_T3_mT4_P12ihipStream_tbEUlT_E0_NS1_11comp_targetILNS1_3genE9ELNS1_11target_archE1100ELNS1_3gpuE3ELNS1_3repE0EEENS1_30default_config_static_selectorELNS0_4arch9wavefront6targetE0EEEvSI_ ; -- Begin function _ZN7rocprim17ROCPRIM_400000_NS6detail17trampoline_kernelINS0_14default_configENS1_22reduce_config_selectorIN6thrust23THRUST_200600_302600_NS5tupleIbffNS6_9null_typeES8_S8_S8_S8_S8_S8_EEEEZNS1_11reduce_implILb1ES3_PS9_SC_S9_12reduce_tupleIifEEE10hipError_tPvRmT1_T2_T3_mT4_P12ihipStream_tbEUlT_E0_NS1_11comp_targetILNS1_3genE9ELNS1_11target_archE1100ELNS1_3gpuE3ELNS1_3repE0EEENS1_30default_config_static_selectorELNS0_4arch9wavefront6targetE0EEEvSI_
	.globl	_ZN7rocprim17ROCPRIM_400000_NS6detail17trampoline_kernelINS0_14default_configENS1_22reduce_config_selectorIN6thrust23THRUST_200600_302600_NS5tupleIbffNS6_9null_typeES8_S8_S8_S8_S8_S8_EEEEZNS1_11reduce_implILb1ES3_PS9_SC_S9_12reduce_tupleIifEEE10hipError_tPvRmT1_T2_T3_mT4_P12ihipStream_tbEUlT_E0_NS1_11comp_targetILNS1_3genE9ELNS1_11target_archE1100ELNS1_3gpuE3ELNS1_3repE0EEENS1_30default_config_static_selectorELNS0_4arch9wavefront6targetE0EEEvSI_
	.p2align	8
	.type	_ZN7rocprim17ROCPRIM_400000_NS6detail17trampoline_kernelINS0_14default_configENS1_22reduce_config_selectorIN6thrust23THRUST_200600_302600_NS5tupleIbffNS6_9null_typeES8_S8_S8_S8_S8_S8_EEEEZNS1_11reduce_implILb1ES3_PS9_SC_S9_12reduce_tupleIifEEE10hipError_tPvRmT1_T2_T3_mT4_P12ihipStream_tbEUlT_E0_NS1_11comp_targetILNS1_3genE9ELNS1_11target_archE1100ELNS1_3gpuE3ELNS1_3repE0EEENS1_30default_config_static_selectorELNS0_4arch9wavefront6targetE0EEEvSI_,@function
_ZN7rocprim17ROCPRIM_400000_NS6detail17trampoline_kernelINS0_14default_configENS1_22reduce_config_selectorIN6thrust23THRUST_200600_302600_NS5tupleIbffNS6_9null_typeES8_S8_S8_S8_S8_S8_EEEEZNS1_11reduce_implILb1ES3_PS9_SC_S9_12reduce_tupleIifEEE10hipError_tPvRmT1_T2_T3_mT4_P12ihipStream_tbEUlT_E0_NS1_11comp_targetILNS1_3genE9ELNS1_11target_archE1100ELNS1_3gpuE3ELNS1_3repE0EEENS1_30default_config_static_selectorELNS0_4arch9wavefront6targetE0EEEvSI_: ; @_ZN7rocprim17ROCPRIM_400000_NS6detail17trampoline_kernelINS0_14default_configENS1_22reduce_config_selectorIN6thrust23THRUST_200600_302600_NS5tupleIbffNS6_9null_typeES8_S8_S8_S8_S8_S8_EEEEZNS1_11reduce_implILb1ES3_PS9_SC_S9_12reduce_tupleIifEEE10hipError_tPvRmT1_T2_T3_mT4_P12ihipStream_tbEUlT_E0_NS1_11comp_targetILNS1_3genE9ELNS1_11target_archE1100ELNS1_3gpuE3ELNS1_3repE0EEENS1_30default_config_static_selectorELNS0_4arch9wavefront6targetE0EEEvSI_
; %bb.0:
	.section	.rodata,"a",@progbits
	.p2align	6, 0x0
	.amdhsa_kernel _ZN7rocprim17ROCPRIM_400000_NS6detail17trampoline_kernelINS0_14default_configENS1_22reduce_config_selectorIN6thrust23THRUST_200600_302600_NS5tupleIbffNS6_9null_typeES8_S8_S8_S8_S8_S8_EEEEZNS1_11reduce_implILb1ES3_PS9_SC_S9_12reduce_tupleIifEEE10hipError_tPvRmT1_T2_T3_mT4_P12ihipStream_tbEUlT_E0_NS1_11comp_targetILNS1_3genE9ELNS1_11target_archE1100ELNS1_3gpuE3ELNS1_3repE0EEENS1_30default_config_static_selectorELNS0_4arch9wavefront6targetE0EEEvSI_
		.amdhsa_group_segment_fixed_size 0
		.amdhsa_private_segment_fixed_size 0
		.amdhsa_kernarg_size 64
		.amdhsa_user_sgpr_count 2
		.amdhsa_user_sgpr_dispatch_ptr 0
		.amdhsa_user_sgpr_queue_ptr 0
		.amdhsa_user_sgpr_kernarg_segment_ptr 1
		.amdhsa_user_sgpr_dispatch_id 0
		.amdhsa_user_sgpr_kernarg_preload_length 0
		.amdhsa_user_sgpr_kernarg_preload_offset 0
		.amdhsa_user_sgpr_private_segment_size 0
		.amdhsa_wavefront_size32 1
		.amdhsa_uses_dynamic_stack 0
		.amdhsa_enable_private_segment 0
		.amdhsa_system_sgpr_workgroup_id_x 1
		.amdhsa_system_sgpr_workgroup_id_y 0
		.amdhsa_system_sgpr_workgroup_id_z 0
		.amdhsa_system_sgpr_workgroup_info 0
		.amdhsa_system_vgpr_workitem_id 0
		.amdhsa_next_free_vgpr 1
		.amdhsa_next_free_sgpr 1
		.amdhsa_named_barrier_count 0
		.amdhsa_reserve_vcc 0
		.amdhsa_float_round_mode_32 0
		.amdhsa_float_round_mode_16_64 0
		.amdhsa_float_denorm_mode_32 3
		.amdhsa_float_denorm_mode_16_64 3
		.amdhsa_fp16_overflow 0
		.amdhsa_memory_ordered 1
		.amdhsa_forward_progress 1
		.amdhsa_inst_pref_size 0
		.amdhsa_round_robin_scheduling 0
		.amdhsa_exception_fp_ieee_invalid_op 0
		.amdhsa_exception_fp_denorm_src 0
		.amdhsa_exception_fp_ieee_div_zero 0
		.amdhsa_exception_fp_ieee_overflow 0
		.amdhsa_exception_fp_ieee_underflow 0
		.amdhsa_exception_fp_ieee_inexact 0
		.amdhsa_exception_int_div_zero 0
	.end_amdhsa_kernel
	.section	.text._ZN7rocprim17ROCPRIM_400000_NS6detail17trampoline_kernelINS0_14default_configENS1_22reduce_config_selectorIN6thrust23THRUST_200600_302600_NS5tupleIbffNS6_9null_typeES8_S8_S8_S8_S8_S8_EEEEZNS1_11reduce_implILb1ES3_PS9_SC_S9_12reduce_tupleIifEEE10hipError_tPvRmT1_T2_T3_mT4_P12ihipStream_tbEUlT_E0_NS1_11comp_targetILNS1_3genE9ELNS1_11target_archE1100ELNS1_3gpuE3ELNS1_3repE0EEENS1_30default_config_static_selectorELNS0_4arch9wavefront6targetE0EEEvSI_,"axG",@progbits,_ZN7rocprim17ROCPRIM_400000_NS6detail17trampoline_kernelINS0_14default_configENS1_22reduce_config_selectorIN6thrust23THRUST_200600_302600_NS5tupleIbffNS6_9null_typeES8_S8_S8_S8_S8_S8_EEEEZNS1_11reduce_implILb1ES3_PS9_SC_S9_12reduce_tupleIifEEE10hipError_tPvRmT1_T2_T3_mT4_P12ihipStream_tbEUlT_E0_NS1_11comp_targetILNS1_3genE9ELNS1_11target_archE1100ELNS1_3gpuE3ELNS1_3repE0EEENS1_30default_config_static_selectorELNS0_4arch9wavefront6targetE0EEEvSI_,comdat
.Lfunc_end8:
	.size	_ZN7rocprim17ROCPRIM_400000_NS6detail17trampoline_kernelINS0_14default_configENS1_22reduce_config_selectorIN6thrust23THRUST_200600_302600_NS5tupleIbffNS6_9null_typeES8_S8_S8_S8_S8_S8_EEEEZNS1_11reduce_implILb1ES3_PS9_SC_S9_12reduce_tupleIifEEE10hipError_tPvRmT1_T2_T3_mT4_P12ihipStream_tbEUlT_E0_NS1_11comp_targetILNS1_3genE9ELNS1_11target_archE1100ELNS1_3gpuE3ELNS1_3repE0EEENS1_30default_config_static_selectorELNS0_4arch9wavefront6targetE0EEEvSI_, .Lfunc_end8-_ZN7rocprim17ROCPRIM_400000_NS6detail17trampoline_kernelINS0_14default_configENS1_22reduce_config_selectorIN6thrust23THRUST_200600_302600_NS5tupleIbffNS6_9null_typeES8_S8_S8_S8_S8_S8_EEEEZNS1_11reduce_implILb1ES3_PS9_SC_S9_12reduce_tupleIifEEE10hipError_tPvRmT1_T2_T3_mT4_P12ihipStream_tbEUlT_E0_NS1_11comp_targetILNS1_3genE9ELNS1_11target_archE1100ELNS1_3gpuE3ELNS1_3repE0EEENS1_30default_config_static_selectorELNS0_4arch9wavefront6targetE0EEEvSI_
                                        ; -- End function
	.set _ZN7rocprim17ROCPRIM_400000_NS6detail17trampoline_kernelINS0_14default_configENS1_22reduce_config_selectorIN6thrust23THRUST_200600_302600_NS5tupleIbffNS6_9null_typeES8_S8_S8_S8_S8_S8_EEEEZNS1_11reduce_implILb1ES3_PS9_SC_S9_12reduce_tupleIifEEE10hipError_tPvRmT1_T2_T3_mT4_P12ihipStream_tbEUlT_E0_NS1_11comp_targetILNS1_3genE9ELNS1_11target_archE1100ELNS1_3gpuE3ELNS1_3repE0EEENS1_30default_config_static_selectorELNS0_4arch9wavefront6targetE0EEEvSI_.num_vgpr, 0
	.set _ZN7rocprim17ROCPRIM_400000_NS6detail17trampoline_kernelINS0_14default_configENS1_22reduce_config_selectorIN6thrust23THRUST_200600_302600_NS5tupleIbffNS6_9null_typeES8_S8_S8_S8_S8_S8_EEEEZNS1_11reduce_implILb1ES3_PS9_SC_S9_12reduce_tupleIifEEE10hipError_tPvRmT1_T2_T3_mT4_P12ihipStream_tbEUlT_E0_NS1_11comp_targetILNS1_3genE9ELNS1_11target_archE1100ELNS1_3gpuE3ELNS1_3repE0EEENS1_30default_config_static_selectorELNS0_4arch9wavefront6targetE0EEEvSI_.num_agpr, 0
	.set _ZN7rocprim17ROCPRIM_400000_NS6detail17trampoline_kernelINS0_14default_configENS1_22reduce_config_selectorIN6thrust23THRUST_200600_302600_NS5tupleIbffNS6_9null_typeES8_S8_S8_S8_S8_S8_EEEEZNS1_11reduce_implILb1ES3_PS9_SC_S9_12reduce_tupleIifEEE10hipError_tPvRmT1_T2_T3_mT4_P12ihipStream_tbEUlT_E0_NS1_11comp_targetILNS1_3genE9ELNS1_11target_archE1100ELNS1_3gpuE3ELNS1_3repE0EEENS1_30default_config_static_selectorELNS0_4arch9wavefront6targetE0EEEvSI_.numbered_sgpr, 0
	.set _ZN7rocprim17ROCPRIM_400000_NS6detail17trampoline_kernelINS0_14default_configENS1_22reduce_config_selectorIN6thrust23THRUST_200600_302600_NS5tupleIbffNS6_9null_typeES8_S8_S8_S8_S8_S8_EEEEZNS1_11reduce_implILb1ES3_PS9_SC_S9_12reduce_tupleIifEEE10hipError_tPvRmT1_T2_T3_mT4_P12ihipStream_tbEUlT_E0_NS1_11comp_targetILNS1_3genE9ELNS1_11target_archE1100ELNS1_3gpuE3ELNS1_3repE0EEENS1_30default_config_static_selectorELNS0_4arch9wavefront6targetE0EEEvSI_.num_named_barrier, 0
	.set _ZN7rocprim17ROCPRIM_400000_NS6detail17trampoline_kernelINS0_14default_configENS1_22reduce_config_selectorIN6thrust23THRUST_200600_302600_NS5tupleIbffNS6_9null_typeES8_S8_S8_S8_S8_S8_EEEEZNS1_11reduce_implILb1ES3_PS9_SC_S9_12reduce_tupleIifEEE10hipError_tPvRmT1_T2_T3_mT4_P12ihipStream_tbEUlT_E0_NS1_11comp_targetILNS1_3genE9ELNS1_11target_archE1100ELNS1_3gpuE3ELNS1_3repE0EEENS1_30default_config_static_selectorELNS0_4arch9wavefront6targetE0EEEvSI_.private_seg_size, 0
	.set _ZN7rocprim17ROCPRIM_400000_NS6detail17trampoline_kernelINS0_14default_configENS1_22reduce_config_selectorIN6thrust23THRUST_200600_302600_NS5tupleIbffNS6_9null_typeES8_S8_S8_S8_S8_S8_EEEEZNS1_11reduce_implILb1ES3_PS9_SC_S9_12reduce_tupleIifEEE10hipError_tPvRmT1_T2_T3_mT4_P12ihipStream_tbEUlT_E0_NS1_11comp_targetILNS1_3genE9ELNS1_11target_archE1100ELNS1_3gpuE3ELNS1_3repE0EEENS1_30default_config_static_selectorELNS0_4arch9wavefront6targetE0EEEvSI_.uses_vcc, 0
	.set _ZN7rocprim17ROCPRIM_400000_NS6detail17trampoline_kernelINS0_14default_configENS1_22reduce_config_selectorIN6thrust23THRUST_200600_302600_NS5tupleIbffNS6_9null_typeES8_S8_S8_S8_S8_S8_EEEEZNS1_11reduce_implILb1ES3_PS9_SC_S9_12reduce_tupleIifEEE10hipError_tPvRmT1_T2_T3_mT4_P12ihipStream_tbEUlT_E0_NS1_11comp_targetILNS1_3genE9ELNS1_11target_archE1100ELNS1_3gpuE3ELNS1_3repE0EEENS1_30default_config_static_selectorELNS0_4arch9wavefront6targetE0EEEvSI_.uses_flat_scratch, 0
	.set _ZN7rocprim17ROCPRIM_400000_NS6detail17trampoline_kernelINS0_14default_configENS1_22reduce_config_selectorIN6thrust23THRUST_200600_302600_NS5tupleIbffNS6_9null_typeES8_S8_S8_S8_S8_S8_EEEEZNS1_11reduce_implILb1ES3_PS9_SC_S9_12reduce_tupleIifEEE10hipError_tPvRmT1_T2_T3_mT4_P12ihipStream_tbEUlT_E0_NS1_11comp_targetILNS1_3genE9ELNS1_11target_archE1100ELNS1_3gpuE3ELNS1_3repE0EEENS1_30default_config_static_selectorELNS0_4arch9wavefront6targetE0EEEvSI_.has_dyn_sized_stack, 0
	.set _ZN7rocprim17ROCPRIM_400000_NS6detail17trampoline_kernelINS0_14default_configENS1_22reduce_config_selectorIN6thrust23THRUST_200600_302600_NS5tupleIbffNS6_9null_typeES8_S8_S8_S8_S8_S8_EEEEZNS1_11reduce_implILb1ES3_PS9_SC_S9_12reduce_tupleIifEEE10hipError_tPvRmT1_T2_T3_mT4_P12ihipStream_tbEUlT_E0_NS1_11comp_targetILNS1_3genE9ELNS1_11target_archE1100ELNS1_3gpuE3ELNS1_3repE0EEENS1_30default_config_static_selectorELNS0_4arch9wavefront6targetE0EEEvSI_.has_recursion, 0
	.set _ZN7rocprim17ROCPRIM_400000_NS6detail17trampoline_kernelINS0_14default_configENS1_22reduce_config_selectorIN6thrust23THRUST_200600_302600_NS5tupleIbffNS6_9null_typeES8_S8_S8_S8_S8_S8_EEEEZNS1_11reduce_implILb1ES3_PS9_SC_S9_12reduce_tupleIifEEE10hipError_tPvRmT1_T2_T3_mT4_P12ihipStream_tbEUlT_E0_NS1_11comp_targetILNS1_3genE9ELNS1_11target_archE1100ELNS1_3gpuE3ELNS1_3repE0EEENS1_30default_config_static_selectorELNS0_4arch9wavefront6targetE0EEEvSI_.has_indirect_call, 0
	.section	.AMDGPU.csdata,"",@progbits
; Kernel info:
; codeLenInByte = 0
; TotalNumSgprs: 0
; NumVgprs: 0
; ScratchSize: 0
; MemoryBound: 0
; FloatMode: 240
; IeeeMode: 1
; LDSByteSize: 0 bytes/workgroup (compile time only)
; SGPRBlocks: 0
; VGPRBlocks: 0
; NumSGPRsForWavesPerEU: 1
; NumVGPRsForWavesPerEU: 1
; NamedBarCnt: 0
; Occupancy: 16
; WaveLimiterHint : 0
; COMPUTE_PGM_RSRC2:SCRATCH_EN: 0
; COMPUTE_PGM_RSRC2:USER_SGPR: 2
; COMPUTE_PGM_RSRC2:TRAP_HANDLER: 0
; COMPUTE_PGM_RSRC2:TGID_X_EN: 1
; COMPUTE_PGM_RSRC2:TGID_Y_EN: 0
; COMPUTE_PGM_RSRC2:TGID_Z_EN: 0
; COMPUTE_PGM_RSRC2:TIDIG_COMP_CNT: 0
	.section	.text._ZN7rocprim17ROCPRIM_400000_NS6detail17trampoline_kernelINS0_14default_configENS1_22reduce_config_selectorIN6thrust23THRUST_200600_302600_NS5tupleIbffNS6_9null_typeES8_S8_S8_S8_S8_S8_EEEEZNS1_11reduce_implILb1ES3_PS9_SC_S9_12reduce_tupleIifEEE10hipError_tPvRmT1_T2_T3_mT4_P12ihipStream_tbEUlT_E0_NS1_11comp_targetILNS1_3genE8ELNS1_11target_archE1030ELNS1_3gpuE2ELNS1_3repE0EEENS1_30default_config_static_selectorELNS0_4arch9wavefront6targetE0EEEvSI_,"axG",@progbits,_ZN7rocprim17ROCPRIM_400000_NS6detail17trampoline_kernelINS0_14default_configENS1_22reduce_config_selectorIN6thrust23THRUST_200600_302600_NS5tupleIbffNS6_9null_typeES8_S8_S8_S8_S8_S8_EEEEZNS1_11reduce_implILb1ES3_PS9_SC_S9_12reduce_tupleIifEEE10hipError_tPvRmT1_T2_T3_mT4_P12ihipStream_tbEUlT_E0_NS1_11comp_targetILNS1_3genE8ELNS1_11target_archE1030ELNS1_3gpuE2ELNS1_3repE0EEENS1_30default_config_static_selectorELNS0_4arch9wavefront6targetE0EEEvSI_,comdat
	.protected	_ZN7rocprim17ROCPRIM_400000_NS6detail17trampoline_kernelINS0_14default_configENS1_22reduce_config_selectorIN6thrust23THRUST_200600_302600_NS5tupleIbffNS6_9null_typeES8_S8_S8_S8_S8_S8_EEEEZNS1_11reduce_implILb1ES3_PS9_SC_S9_12reduce_tupleIifEEE10hipError_tPvRmT1_T2_T3_mT4_P12ihipStream_tbEUlT_E0_NS1_11comp_targetILNS1_3genE8ELNS1_11target_archE1030ELNS1_3gpuE2ELNS1_3repE0EEENS1_30default_config_static_selectorELNS0_4arch9wavefront6targetE0EEEvSI_ ; -- Begin function _ZN7rocprim17ROCPRIM_400000_NS6detail17trampoline_kernelINS0_14default_configENS1_22reduce_config_selectorIN6thrust23THRUST_200600_302600_NS5tupleIbffNS6_9null_typeES8_S8_S8_S8_S8_S8_EEEEZNS1_11reduce_implILb1ES3_PS9_SC_S9_12reduce_tupleIifEEE10hipError_tPvRmT1_T2_T3_mT4_P12ihipStream_tbEUlT_E0_NS1_11comp_targetILNS1_3genE8ELNS1_11target_archE1030ELNS1_3gpuE2ELNS1_3repE0EEENS1_30default_config_static_selectorELNS0_4arch9wavefront6targetE0EEEvSI_
	.globl	_ZN7rocprim17ROCPRIM_400000_NS6detail17trampoline_kernelINS0_14default_configENS1_22reduce_config_selectorIN6thrust23THRUST_200600_302600_NS5tupleIbffNS6_9null_typeES8_S8_S8_S8_S8_S8_EEEEZNS1_11reduce_implILb1ES3_PS9_SC_S9_12reduce_tupleIifEEE10hipError_tPvRmT1_T2_T3_mT4_P12ihipStream_tbEUlT_E0_NS1_11comp_targetILNS1_3genE8ELNS1_11target_archE1030ELNS1_3gpuE2ELNS1_3repE0EEENS1_30default_config_static_selectorELNS0_4arch9wavefront6targetE0EEEvSI_
	.p2align	8
	.type	_ZN7rocprim17ROCPRIM_400000_NS6detail17trampoline_kernelINS0_14default_configENS1_22reduce_config_selectorIN6thrust23THRUST_200600_302600_NS5tupleIbffNS6_9null_typeES8_S8_S8_S8_S8_S8_EEEEZNS1_11reduce_implILb1ES3_PS9_SC_S9_12reduce_tupleIifEEE10hipError_tPvRmT1_T2_T3_mT4_P12ihipStream_tbEUlT_E0_NS1_11comp_targetILNS1_3genE8ELNS1_11target_archE1030ELNS1_3gpuE2ELNS1_3repE0EEENS1_30default_config_static_selectorELNS0_4arch9wavefront6targetE0EEEvSI_,@function
_ZN7rocprim17ROCPRIM_400000_NS6detail17trampoline_kernelINS0_14default_configENS1_22reduce_config_selectorIN6thrust23THRUST_200600_302600_NS5tupleIbffNS6_9null_typeES8_S8_S8_S8_S8_S8_EEEEZNS1_11reduce_implILb1ES3_PS9_SC_S9_12reduce_tupleIifEEE10hipError_tPvRmT1_T2_T3_mT4_P12ihipStream_tbEUlT_E0_NS1_11comp_targetILNS1_3genE8ELNS1_11target_archE1030ELNS1_3gpuE2ELNS1_3repE0EEENS1_30default_config_static_selectorELNS0_4arch9wavefront6targetE0EEEvSI_: ; @_ZN7rocprim17ROCPRIM_400000_NS6detail17trampoline_kernelINS0_14default_configENS1_22reduce_config_selectorIN6thrust23THRUST_200600_302600_NS5tupleIbffNS6_9null_typeES8_S8_S8_S8_S8_S8_EEEEZNS1_11reduce_implILb1ES3_PS9_SC_S9_12reduce_tupleIifEEE10hipError_tPvRmT1_T2_T3_mT4_P12ihipStream_tbEUlT_E0_NS1_11comp_targetILNS1_3genE8ELNS1_11target_archE1030ELNS1_3gpuE2ELNS1_3repE0EEENS1_30default_config_static_selectorELNS0_4arch9wavefront6targetE0EEEvSI_
; %bb.0:
	.section	.rodata,"a",@progbits
	.p2align	6, 0x0
	.amdhsa_kernel _ZN7rocprim17ROCPRIM_400000_NS6detail17trampoline_kernelINS0_14default_configENS1_22reduce_config_selectorIN6thrust23THRUST_200600_302600_NS5tupleIbffNS6_9null_typeES8_S8_S8_S8_S8_S8_EEEEZNS1_11reduce_implILb1ES3_PS9_SC_S9_12reduce_tupleIifEEE10hipError_tPvRmT1_T2_T3_mT4_P12ihipStream_tbEUlT_E0_NS1_11comp_targetILNS1_3genE8ELNS1_11target_archE1030ELNS1_3gpuE2ELNS1_3repE0EEENS1_30default_config_static_selectorELNS0_4arch9wavefront6targetE0EEEvSI_
		.amdhsa_group_segment_fixed_size 0
		.amdhsa_private_segment_fixed_size 0
		.amdhsa_kernarg_size 64
		.amdhsa_user_sgpr_count 2
		.amdhsa_user_sgpr_dispatch_ptr 0
		.amdhsa_user_sgpr_queue_ptr 0
		.amdhsa_user_sgpr_kernarg_segment_ptr 1
		.amdhsa_user_sgpr_dispatch_id 0
		.amdhsa_user_sgpr_kernarg_preload_length 0
		.amdhsa_user_sgpr_kernarg_preload_offset 0
		.amdhsa_user_sgpr_private_segment_size 0
		.amdhsa_wavefront_size32 1
		.amdhsa_uses_dynamic_stack 0
		.amdhsa_enable_private_segment 0
		.amdhsa_system_sgpr_workgroup_id_x 1
		.amdhsa_system_sgpr_workgroup_id_y 0
		.amdhsa_system_sgpr_workgroup_id_z 0
		.amdhsa_system_sgpr_workgroup_info 0
		.amdhsa_system_vgpr_workitem_id 0
		.amdhsa_next_free_vgpr 1
		.amdhsa_next_free_sgpr 1
		.amdhsa_named_barrier_count 0
		.amdhsa_reserve_vcc 0
		.amdhsa_float_round_mode_32 0
		.amdhsa_float_round_mode_16_64 0
		.amdhsa_float_denorm_mode_32 3
		.amdhsa_float_denorm_mode_16_64 3
		.amdhsa_fp16_overflow 0
		.amdhsa_memory_ordered 1
		.amdhsa_forward_progress 1
		.amdhsa_inst_pref_size 0
		.amdhsa_round_robin_scheduling 0
		.amdhsa_exception_fp_ieee_invalid_op 0
		.amdhsa_exception_fp_denorm_src 0
		.amdhsa_exception_fp_ieee_div_zero 0
		.amdhsa_exception_fp_ieee_overflow 0
		.amdhsa_exception_fp_ieee_underflow 0
		.amdhsa_exception_fp_ieee_inexact 0
		.amdhsa_exception_int_div_zero 0
	.end_amdhsa_kernel
	.section	.text._ZN7rocprim17ROCPRIM_400000_NS6detail17trampoline_kernelINS0_14default_configENS1_22reduce_config_selectorIN6thrust23THRUST_200600_302600_NS5tupleIbffNS6_9null_typeES8_S8_S8_S8_S8_S8_EEEEZNS1_11reduce_implILb1ES3_PS9_SC_S9_12reduce_tupleIifEEE10hipError_tPvRmT1_T2_T3_mT4_P12ihipStream_tbEUlT_E0_NS1_11comp_targetILNS1_3genE8ELNS1_11target_archE1030ELNS1_3gpuE2ELNS1_3repE0EEENS1_30default_config_static_selectorELNS0_4arch9wavefront6targetE0EEEvSI_,"axG",@progbits,_ZN7rocprim17ROCPRIM_400000_NS6detail17trampoline_kernelINS0_14default_configENS1_22reduce_config_selectorIN6thrust23THRUST_200600_302600_NS5tupleIbffNS6_9null_typeES8_S8_S8_S8_S8_S8_EEEEZNS1_11reduce_implILb1ES3_PS9_SC_S9_12reduce_tupleIifEEE10hipError_tPvRmT1_T2_T3_mT4_P12ihipStream_tbEUlT_E0_NS1_11comp_targetILNS1_3genE8ELNS1_11target_archE1030ELNS1_3gpuE2ELNS1_3repE0EEENS1_30default_config_static_selectorELNS0_4arch9wavefront6targetE0EEEvSI_,comdat
.Lfunc_end9:
	.size	_ZN7rocprim17ROCPRIM_400000_NS6detail17trampoline_kernelINS0_14default_configENS1_22reduce_config_selectorIN6thrust23THRUST_200600_302600_NS5tupleIbffNS6_9null_typeES8_S8_S8_S8_S8_S8_EEEEZNS1_11reduce_implILb1ES3_PS9_SC_S9_12reduce_tupleIifEEE10hipError_tPvRmT1_T2_T3_mT4_P12ihipStream_tbEUlT_E0_NS1_11comp_targetILNS1_3genE8ELNS1_11target_archE1030ELNS1_3gpuE2ELNS1_3repE0EEENS1_30default_config_static_selectorELNS0_4arch9wavefront6targetE0EEEvSI_, .Lfunc_end9-_ZN7rocprim17ROCPRIM_400000_NS6detail17trampoline_kernelINS0_14default_configENS1_22reduce_config_selectorIN6thrust23THRUST_200600_302600_NS5tupleIbffNS6_9null_typeES8_S8_S8_S8_S8_S8_EEEEZNS1_11reduce_implILb1ES3_PS9_SC_S9_12reduce_tupleIifEEE10hipError_tPvRmT1_T2_T3_mT4_P12ihipStream_tbEUlT_E0_NS1_11comp_targetILNS1_3genE8ELNS1_11target_archE1030ELNS1_3gpuE2ELNS1_3repE0EEENS1_30default_config_static_selectorELNS0_4arch9wavefront6targetE0EEEvSI_
                                        ; -- End function
	.set _ZN7rocprim17ROCPRIM_400000_NS6detail17trampoline_kernelINS0_14default_configENS1_22reduce_config_selectorIN6thrust23THRUST_200600_302600_NS5tupleIbffNS6_9null_typeES8_S8_S8_S8_S8_S8_EEEEZNS1_11reduce_implILb1ES3_PS9_SC_S9_12reduce_tupleIifEEE10hipError_tPvRmT1_T2_T3_mT4_P12ihipStream_tbEUlT_E0_NS1_11comp_targetILNS1_3genE8ELNS1_11target_archE1030ELNS1_3gpuE2ELNS1_3repE0EEENS1_30default_config_static_selectorELNS0_4arch9wavefront6targetE0EEEvSI_.num_vgpr, 0
	.set _ZN7rocprim17ROCPRIM_400000_NS6detail17trampoline_kernelINS0_14default_configENS1_22reduce_config_selectorIN6thrust23THRUST_200600_302600_NS5tupleIbffNS6_9null_typeES8_S8_S8_S8_S8_S8_EEEEZNS1_11reduce_implILb1ES3_PS9_SC_S9_12reduce_tupleIifEEE10hipError_tPvRmT1_T2_T3_mT4_P12ihipStream_tbEUlT_E0_NS1_11comp_targetILNS1_3genE8ELNS1_11target_archE1030ELNS1_3gpuE2ELNS1_3repE0EEENS1_30default_config_static_selectorELNS0_4arch9wavefront6targetE0EEEvSI_.num_agpr, 0
	.set _ZN7rocprim17ROCPRIM_400000_NS6detail17trampoline_kernelINS0_14default_configENS1_22reduce_config_selectorIN6thrust23THRUST_200600_302600_NS5tupleIbffNS6_9null_typeES8_S8_S8_S8_S8_S8_EEEEZNS1_11reduce_implILb1ES3_PS9_SC_S9_12reduce_tupleIifEEE10hipError_tPvRmT1_T2_T3_mT4_P12ihipStream_tbEUlT_E0_NS1_11comp_targetILNS1_3genE8ELNS1_11target_archE1030ELNS1_3gpuE2ELNS1_3repE0EEENS1_30default_config_static_selectorELNS0_4arch9wavefront6targetE0EEEvSI_.numbered_sgpr, 0
	.set _ZN7rocprim17ROCPRIM_400000_NS6detail17trampoline_kernelINS0_14default_configENS1_22reduce_config_selectorIN6thrust23THRUST_200600_302600_NS5tupleIbffNS6_9null_typeES8_S8_S8_S8_S8_S8_EEEEZNS1_11reduce_implILb1ES3_PS9_SC_S9_12reduce_tupleIifEEE10hipError_tPvRmT1_T2_T3_mT4_P12ihipStream_tbEUlT_E0_NS1_11comp_targetILNS1_3genE8ELNS1_11target_archE1030ELNS1_3gpuE2ELNS1_3repE0EEENS1_30default_config_static_selectorELNS0_4arch9wavefront6targetE0EEEvSI_.num_named_barrier, 0
	.set _ZN7rocprim17ROCPRIM_400000_NS6detail17trampoline_kernelINS0_14default_configENS1_22reduce_config_selectorIN6thrust23THRUST_200600_302600_NS5tupleIbffNS6_9null_typeES8_S8_S8_S8_S8_S8_EEEEZNS1_11reduce_implILb1ES3_PS9_SC_S9_12reduce_tupleIifEEE10hipError_tPvRmT1_T2_T3_mT4_P12ihipStream_tbEUlT_E0_NS1_11comp_targetILNS1_3genE8ELNS1_11target_archE1030ELNS1_3gpuE2ELNS1_3repE0EEENS1_30default_config_static_selectorELNS0_4arch9wavefront6targetE0EEEvSI_.private_seg_size, 0
	.set _ZN7rocprim17ROCPRIM_400000_NS6detail17trampoline_kernelINS0_14default_configENS1_22reduce_config_selectorIN6thrust23THRUST_200600_302600_NS5tupleIbffNS6_9null_typeES8_S8_S8_S8_S8_S8_EEEEZNS1_11reduce_implILb1ES3_PS9_SC_S9_12reduce_tupleIifEEE10hipError_tPvRmT1_T2_T3_mT4_P12ihipStream_tbEUlT_E0_NS1_11comp_targetILNS1_3genE8ELNS1_11target_archE1030ELNS1_3gpuE2ELNS1_3repE0EEENS1_30default_config_static_selectorELNS0_4arch9wavefront6targetE0EEEvSI_.uses_vcc, 0
	.set _ZN7rocprim17ROCPRIM_400000_NS6detail17trampoline_kernelINS0_14default_configENS1_22reduce_config_selectorIN6thrust23THRUST_200600_302600_NS5tupleIbffNS6_9null_typeES8_S8_S8_S8_S8_S8_EEEEZNS1_11reduce_implILb1ES3_PS9_SC_S9_12reduce_tupleIifEEE10hipError_tPvRmT1_T2_T3_mT4_P12ihipStream_tbEUlT_E0_NS1_11comp_targetILNS1_3genE8ELNS1_11target_archE1030ELNS1_3gpuE2ELNS1_3repE0EEENS1_30default_config_static_selectorELNS0_4arch9wavefront6targetE0EEEvSI_.uses_flat_scratch, 0
	.set _ZN7rocprim17ROCPRIM_400000_NS6detail17trampoline_kernelINS0_14default_configENS1_22reduce_config_selectorIN6thrust23THRUST_200600_302600_NS5tupleIbffNS6_9null_typeES8_S8_S8_S8_S8_S8_EEEEZNS1_11reduce_implILb1ES3_PS9_SC_S9_12reduce_tupleIifEEE10hipError_tPvRmT1_T2_T3_mT4_P12ihipStream_tbEUlT_E0_NS1_11comp_targetILNS1_3genE8ELNS1_11target_archE1030ELNS1_3gpuE2ELNS1_3repE0EEENS1_30default_config_static_selectorELNS0_4arch9wavefront6targetE0EEEvSI_.has_dyn_sized_stack, 0
	.set _ZN7rocprim17ROCPRIM_400000_NS6detail17trampoline_kernelINS0_14default_configENS1_22reduce_config_selectorIN6thrust23THRUST_200600_302600_NS5tupleIbffNS6_9null_typeES8_S8_S8_S8_S8_S8_EEEEZNS1_11reduce_implILb1ES3_PS9_SC_S9_12reduce_tupleIifEEE10hipError_tPvRmT1_T2_T3_mT4_P12ihipStream_tbEUlT_E0_NS1_11comp_targetILNS1_3genE8ELNS1_11target_archE1030ELNS1_3gpuE2ELNS1_3repE0EEENS1_30default_config_static_selectorELNS0_4arch9wavefront6targetE0EEEvSI_.has_recursion, 0
	.set _ZN7rocprim17ROCPRIM_400000_NS6detail17trampoline_kernelINS0_14default_configENS1_22reduce_config_selectorIN6thrust23THRUST_200600_302600_NS5tupleIbffNS6_9null_typeES8_S8_S8_S8_S8_S8_EEEEZNS1_11reduce_implILb1ES3_PS9_SC_S9_12reduce_tupleIifEEE10hipError_tPvRmT1_T2_T3_mT4_P12ihipStream_tbEUlT_E0_NS1_11comp_targetILNS1_3genE8ELNS1_11target_archE1030ELNS1_3gpuE2ELNS1_3repE0EEENS1_30default_config_static_selectorELNS0_4arch9wavefront6targetE0EEEvSI_.has_indirect_call, 0
	.section	.AMDGPU.csdata,"",@progbits
; Kernel info:
; codeLenInByte = 0
; TotalNumSgprs: 0
; NumVgprs: 0
; ScratchSize: 0
; MemoryBound: 0
; FloatMode: 240
; IeeeMode: 1
; LDSByteSize: 0 bytes/workgroup (compile time only)
; SGPRBlocks: 0
; VGPRBlocks: 0
; NumSGPRsForWavesPerEU: 1
; NumVGPRsForWavesPerEU: 1
; NamedBarCnt: 0
; Occupancy: 16
; WaveLimiterHint : 0
; COMPUTE_PGM_RSRC2:SCRATCH_EN: 0
; COMPUTE_PGM_RSRC2:USER_SGPR: 2
; COMPUTE_PGM_RSRC2:TRAP_HANDLER: 0
; COMPUTE_PGM_RSRC2:TGID_X_EN: 1
; COMPUTE_PGM_RSRC2:TGID_Y_EN: 0
; COMPUTE_PGM_RSRC2:TGID_Z_EN: 0
; COMPUTE_PGM_RSRC2:TIDIG_COMP_CNT: 0
	.section	.text._ZN7rocprim17ROCPRIM_400000_NS6detail17trampoline_kernelINS0_14default_configENS1_22reduce_config_selectorIN6thrust23THRUST_200600_302600_NS5tupleIbffNS6_9null_typeES8_S8_S8_S8_S8_S8_EEEEZNS1_11reduce_implILb1ES3_PS9_SC_S9_12reduce_tupleIifEEE10hipError_tPvRmT1_T2_T3_mT4_P12ihipStream_tbEUlT_E1_NS1_11comp_targetILNS1_3genE0ELNS1_11target_archE4294967295ELNS1_3gpuE0ELNS1_3repE0EEENS1_30default_config_static_selectorELNS0_4arch9wavefront6targetE0EEEvSI_,"axG",@progbits,_ZN7rocprim17ROCPRIM_400000_NS6detail17trampoline_kernelINS0_14default_configENS1_22reduce_config_selectorIN6thrust23THRUST_200600_302600_NS5tupleIbffNS6_9null_typeES8_S8_S8_S8_S8_S8_EEEEZNS1_11reduce_implILb1ES3_PS9_SC_S9_12reduce_tupleIifEEE10hipError_tPvRmT1_T2_T3_mT4_P12ihipStream_tbEUlT_E1_NS1_11comp_targetILNS1_3genE0ELNS1_11target_archE4294967295ELNS1_3gpuE0ELNS1_3repE0EEENS1_30default_config_static_selectorELNS0_4arch9wavefront6targetE0EEEvSI_,comdat
	.protected	_ZN7rocprim17ROCPRIM_400000_NS6detail17trampoline_kernelINS0_14default_configENS1_22reduce_config_selectorIN6thrust23THRUST_200600_302600_NS5tupleIbffNS6_9null_typeES8_S8_S8_S8_S8_S8_EEEEZNS1_11reduce_implILb1ES3_PS9_SC_S9_12reduce_tupleIifEEE10hipError_tPvRmT1_T2_T3_mT4_P12ihipStream_tbEUlT_E1_NS1_11comp_targetILNS1_3genE0ELNS1_11target_archE4294967295ELNS1_3gpuE0ELNS1_3repE0EEENS1_30default_config_static_selectorELNS0_4arch9wavefront6targetE0EEEvSI_ ; -- Begin function _ZN7rocprim17ROCPRIM_400000_NS6detail17trampoline_kernelINS0_14default_configENS1_22reduce_config_selectorIN6thrust23THRUST_200600_302600_NS5tupleIbffNS6_9null_typeES8_S8_S8_S8_S8_S8_EEEEZNS1_11reduce_implILb1ES3_PS9_SC_S9_12reduce_tupleIifEEE10hipError_tPvRmT1_T2_T3_mT4_P12ihipStream_tbEUlT_E1_NS1_11comp_targetILNS1_3genE0ELNS1_11target_archE4294967295ELNS1_3gpuE0ELNS1_3repE0EEENS1_30default_config_static_selectorELNS0_4arch9wavefront6targetE0EEEvSI_
	.globl	_ZN7rocprim17ROCPRIM_400000_NS6detail17trampoline_kernelINS0_14default_configENS1_22reduce_config_selectorIN6thrust23THRUST_200600_302600_NS5tupleIbffNS6_9null_typeES8_S8_S8_S8_S8_S8_EEEEZNS1_11reduce_implILb1ES3_PS9_SC_S9_12reduce_tupleIifEEE10hipError_tPvRmT1_T2_T3_mT4_P12ihipStream_tbEUlT_E1_NS1_11comp_targetILNS1_3genE0ELNS1_11target_archE4294967295ELNS1_3gpuE0ELNS1_3repE0EEENS1_30default_config_static_selectorELNS0_4arch9wavefront6targetE0EEEvSI_
	.p2align	8
	.type	_ZN7rocprim17ROCPRIM_400000_NS6detail17trampoline_kernelINS0_14default_configENS1_22reduce_config_selectorIN6thrust23THRUST_200600_302600_NS5tupleIbffNS6_9null_typeES8_S8_S8_S8_S8_S8_EEEEZNS1_11reduce_implILb1ES3_PS9_SC_S9_12reduce_tupleIifEEE10hipError_tPvRmT1_T2_T3_mT4_P12ihipStream_tbEUlT_E1_NS1_11comp_targetILNS1_3genE0ELNS1_11target_archE4294967295ELNS1_3gpuE0ELNS1_3repE0EEENS1_30default_config_static_selectorELNS0_4arch9wavefront6targetE0EEEvSI_,@function
_ZN7rocprim17ROCPRIM_400000_NS6detail17trampoline_kernelINS0_14default_configENS1_22reduce_config_selectorIN6thrust23THRUST_200600_302600_NS5tupleIbffNS6_9null_typeES8_S8_S8_S8_S8_S8_EEEEZNS1_11reduce_implILb1ES3_PS9_SC_S9_12reduce_tupleIifEEE10hipError_tPvRmT1_T2_T3_mT4_P12ihipStream_tbEUlT_E1_NS1_11comp_targetILNS1_3genE0ELNS1_11target_archE4294967295ELNS1_3gpuE0ELNS1_3repE0EEENS1_30default_config_static_selectorELNS0_4arch9wavefront6targetE0EEEvSI_: ; @_ZN7rocprim17ROCPRIM_400000_NS6detail17trampoline_kernelINS0_14default_configENS1_22reduce_config_selectorIN6thrust23THRUST_200600_302600_NS5tupleIbffNS6_9null_typeES8_S8_S8_S8_S8_S8_EEEEZNS1_11reduce_implILb1ES3_PS9_SC_S9_12reduce_tupleIifEEE10hipError_tPvRmT1_T2_T3_mT4_P12ihipStream_tbEUlT_E1_NS1_11comp_targetILNS1_3genE0ELNS1_11target_archE4294967295ELNS1_3gpuE0ELNS1_3repE0EEENS1_30default_config_static_selectorELNS0_4arch9wavefront6targetE0EEEvSI_
; %bb.0:
	s_clause 0x3
	s_load_b32 s26, s[0:1], 0x4
	s_load_b128 s[20:23], s[0:1], 0x8
	s_load_b32 s17, s[0:1], 0x20
	s_load_b64 s[18:19], s[0:1], 0x24
	s_wait_kmcnt 0x0
	s_cmp_lt_i32 s26, 4
	s_cbranch_scc1 .LBB10_142
; %bb.1:
	s_cmp_gt_i32 s26, 7
	s_cbranch_scc0 .LBB10_143
; %bb.2:
	s_cmp_gt_i32 s26, 15
	s_cbranch_scc0 .LBB10_144
; %bb.3:
	s_cmp_eq_u32 s26, 16
	s_mov_b32 s27, 0
	s_cbranch_scc0 .LBB10_145
; %bb.4:
	s_bfe_u32 s2, ttmp6, 0x4000c
	s_and_b32 s3, ttmp6, 15
	s_add_co_i32 s2, s2, 1
	s_getreg_b32 s4, hwreg(HW_REG_IB_STS2, 6, 4)
	s_mul_i32 s2, ttmp9, s2
	s_mov_b32 s25, 0
	s_add_co_i32 s3, s3, s2
	s_cmp_eq_u32 s4, 0
	s_mov_b32 s5, s25
	s_cselect_b32 s24, ttmp9, s3
	s_delay_alu instid0(SALU_CYCLE_1) | instskip(NEXT) | instid1(SALU_CYCLE_1)
	s_lshl_b32 s4, s24, 11
	s_mul_u64 s[2:3], s[4:5], 12
	s_delay_alu instid0(SALU_CYCLE_1) | instskip(NEXT) | instid1(SALU_CYCLE_1)
	s_add_nc_u64 s[2:3], s[20:21], s[2:3]
	v_mad_nc_u64_u32 v[4:5], v0, 12, s[2:3]
	s_lshr_b64 s[2:3], s[22:23], 11
	s_delay_alu instid0(SALU_CYCLE_1)
	s_cmp_lg_u64 s[2:3], s[24:25]
	s_cbranch_scc0 .LBB10_238
; %bb.5:
	s_clause 0x1f
	global_load_u8 v50, v[4:5], off
	global_load_u8 v49, v[4:5], off offset:1536
	global_load_b64 v[34:35], v[4:5], off offset:1540
	global_load_b64 v[2:3], v[4:5], off offset:4
	global_load_u8 v48, v[4:5], off offset:3072
	global_load_u8 v47, v[4:5], off offset:4608
	global_load_b64 v[30:31], v[4:5], off offset:4612
	global_load_b64 v[32:33], v[4:5], off offset:3076
	global_load_u8 v46, v[4:5], off offset:6144
	;; [unrolled: 4-line block ×7, first 2 shown]
	global_load_u8 v1, v[4:5], off offset:23040
	global_load_b64 v[6:7], v[4:5], off offset:23044
	global_load_b64 v[8:9], v[4:5], off offset:21508
	s_mov_b32 s2, exec_lo
	s_wait_loadcnt 0x1e
	v_and_b32_e32 v51, v49, v50
	s_delay_alu instid0(VALU_DEP_1) | instskip(SKIP_1) | instid1(VALU_DEP_1)
	v_and_b32_e32 v51, 1, v51
	s_wait_xcnt 0x0
	v_cmpx_eq_u32_e32 1, v51
	s_xor_b32 s2, exec_lo, s2
	s_cbranch_execz .LBB10_7
; %bb.6:
	s_wait_loadcnt 0x1c
	v_cmp_lt_f32_e32 vcc_lo, v3, v35
                                        ; implicit-def: $vgpr50
                                        ; implicit-def: $vgpr49
	v_cndmask_b32_e32 v3, v3, v35, vcc_lo
	v_cmp_lt_f32_e32 vcc_lo, v34, v2
	v_cndmask_b32_e32 v2, v2, v34, vcc_lo
                                        ; implicit-def: $vgpr34_vgpr35
.LBB10_7:
	s_or_saveexec_b32 s2, s2
	s_mov_b32 s5, -1
	s_xor_b32 exec_lo, exec_lo, s2
	s_cbranch_execz .LBB10_11
; %bb.8:
	v_and_b32_e32 v50, 1, v50
	s_mov_b32 s3, -1
	s_delay_alu instid0(VALU_DEP_1) | instskip(SKIP_1) | instid1(SALU_CYCLE_1)
	v_cmp_eq_u32_e32 vcc_lo, 1, v50
	s_xor_b32 s6, vcc_lo, -1
	s_and_saveexec_b32 s5, s6
	s_cbranch_execz .LBB10_10
; %bb.9:
	s_wait_loadcnt 0x1c
	v_and_b32_e32 v2, 1, v49
	s_delay_alu instid0(VALU_DEP_1)
	v_cmp_eq_u32_e32 vcc_lo, 1, v2
	v_mov_b64_e32 v[2:3], v[34:35]
	s_or_not1_b32 s3, vcc_lo, exec_lo
.LBB10_10:
	s_or_b32 exec_lo, exec_lo, s5
	s_delay_alu instid0(SALU_CYCLE_1)
	s_or_not1_b32 s5, s3, exec_lo
.LBB10_11:
	s_or_b32 exec_lo, exec_lo, s2
	s_wait_loadcnt 0x1b
	v_and_b32_e32 v34, 1, v48
                                        ; implicit-def: $sgpr3
	s_delay_alu instid0(VALU_DEP_1) | instskip(SKIP_1) | instid1(SALU_CYCLE_1)
	v_cmp_eq_u32_e32 vcc_lo, 1, v34
	s_and_b32 s2, s5, vcc_lo
	s_xor_b32 s2, s2, -1
	s_delay_alu instid0(SALU_CYCLE_1) | instskip(NEXT) | instid1(SALU_CYCLE_1)
	s_and_saveexec_b32 s6, s2
	s_xor_b32 s2, exec_lo, s6
	s_cbranch_execz .LBB10_15
; %bb.12:
	s_xor_b32 s6, s5, -1
	s_mov_b32 s3, -1
	s_and_saveexec_b32 s5, s6
	s_cbranch_execz .LBB10_14
; %bb.13:
	s_wait_loadcnt 0x18
	v_mov_b64_e32 v[2:3], v[32:33]
	s_or_not1_b32 s3, vcc_lo, exec_lo
.LBB10_14:
	s_or_b32 exec_lo, exec_lo, s5
                                        ; implicit-def: $vgpr32_vgpr33
.LBB10_15:
	s_and_not1_saveexec_b32 s2, s2
	s_cbranch_execz .LBB10_17
; %bb.16:
	s_wait_loadcnt 0x18
	s_delay_alu instid0(VALU_DEP_1)
	v_cmp_lt_f32_e32 vcc_lo, v3, v33
	s_or_b32 s3, s3, exec_lo
	v_cndmask_b32_e32 v3, v3, v33, vcc_lo
	v_cmp_lt_f32_e32 vcc_lo, v32, v2
	v_cndmask_b32_e32 v2, v2, v32, vcc_lo
.LBB10_17:
	s_or_b32 exec_lo, exec_lo, s2
	s_wait_loadcnt 0x18
	v_and_b32_e32 v32, 1, v47
	s_mov_b32 s2, -1
	s_delay_alu instid0(VALU_DEP_1) | instskip(SKIP_1) | instid1(SALU_CYCLE_1)
	v_cmp_eq_u32_e32 vcc_lo, 1, v32
	s_and_b32 s5, s3, vcc_lo
	s_xor_b32 s5, s5, -1
	s_delay_alu instid0(SALU_CYCLE_1) | instskip(NEXT) | instid1(SALU_CYCLE_1)
	s_and_saveexec_b32 s6, s5
	s_xor_b32 s5, exec_lo, s6
	s_cbranch_execz .LBB10_21
; %bb.18:
	s_xor_b32 s6, s3, -1
	s_delay_alu instid0(SALU_CYCLE_1)
	s_and_saveexec_b32 s3, s6
; %bb.19:
	v_mov_b64_e32 v[2:3], v[30:31]
	s_or_not1_b32 s2, vcc_lo, exec_lo
; %bb.20:
	s_or_b32 exec_lo, exec_lo, s3
                                        ; implicit-def: $vgpr30_vgpr31
.LBB10_21:
	s_and_not1_saveexec_b32 s3, s5
; %bb.22:
	s_delay_alu instid0(VALU_DEP_1)
	v_cmp_lt_f32_e32 vcc_lo, v3, v31
	s_or_b32 s2, s2, exec_lo
	v_cndmask_b32_e32 v3, v3, v31, vcc_lo
	v_cmp_lt_f32_e32 vcc_lo, v30, v2
	v_cndmask_b32_e32 v2, v2, v30, vcc_lo
; %bb.23:
	s_or_b32 exec_lo, exec_lo, s3
	s_wait_loadcnt 0x17
	v_and_b32_e32 v30, 1, v46
	s_mov_b32 s3, -1
	s_delay_alu instid0(VALU_DEP_1) | instskip(SKIP_1) | instid1(SALU_CYCLE_1)
	v_cmp_eq_u32_e32 vcc_lo, 1, v30
	s_and_b32 s5, s2, vcc_lo
	s_xor_b32 s5, s5, -1
	s_delay_alu instid0(SALU_CYCLE_1) | instskip(NEXT) | instid1(SALU_CYCLE_1)
	s_and_saveexec_b32 s6, s5
	s_xor_b32 s5, exec_lo, s6
	s_cbranch_execz .LBB10_27
; %bb.24:
	s_xor_b32 s6, s2, -1
	s_delay_alu instid0(SALU_CYCLE_1)
	s_and_saveexec_b32 s2, s6
	s_cbranch_execz .LBB10_26
; %bb.25:
	s_wait_loadcnt 0x14
	v_mov_b64_e32 v[2:3], v[28:29]
	s_or_not1_b32 s3, vcc_lo, exec_lo
.LBB10_26:
	s_or_b32 exec_lo, exec_lo, s2
                                        ; implicit-def: $vgpr28_vgpr29
.LBB10_27:
	s_and_not1_saveexec_b32 s2, s5
	s_cbranch_execz .LBB10_29
; %bb.28:
	s_wait_loadcnt 0x14
	s_delay_alu instid0(VALU_DEP_1)
	v_cmp_lt_f32_e32 vcc_lo, v3, v29
	s_or_b32 s3, s3, exec_lo
	v_cndmask_b32_e32 v3, v3, v29, vcc_lo
	v_cmp_lt_f32_e32 vcc_lo, v28, v2
	v_cndmask_b32_e32 v2, v2, v28, vcc_lo
.LBB10_29:
	s_or_b32 exec_lo, exec_lo, s2
	s_wait_loadcnt 0x14
	v_and_b32_e32 v28, 1, v45
	s_mov_b32 s2, -1
	s_delay_alu instid0(VALU_DEP_1) | instskip(SKIP_1) | instid1(SALU_CYCLE_1)
	v_cmp_eq_u32_e32 vcc_lo, 1, v28
	s_and_b32 s5, s3, vcc_lo
	s_xor_b32 s5, s5, -1
	s_delay_alu instid0(SALU_CYCLE_1) | instskip(NEXT) | instid1(SALU_CYCLE_1)
	s_and_saveexec_b32 s6, s5
	s_xor_b32 s5, exec_lo, s6
	s_cbranch_execz .LBB10_33
; %bb.30:
	s_xor_b32 s6, s3, -1
	s_delay_alu instid0(SALU_CYCLE_1)
	s_and_saveexec_b32 s3, s6
; %bb.31:
	v_mov_b64_e32 v[2:3], v[26:27]
	s_or_not1_b32 s2, vcc_lo, exec_lo
; %bb.32:
	s_or_b32 exec_lo, exec_lo, s3
                                        ; implicit-def: $vgpr26_vgpr27
.LBB10_33:
	s_and_not1_saveexec_b32 s3, s5
; %bb.34:
	s_delay_alu instid0(VALU_DEP_1)
	v_cmp_lt_f32_e32 vcc_lo, v3, v27
	s_or_b32 s2, s2, exec_lo
	v_cndmask_b32_e32 v3, v3, v27, vcc_lo
	v_cmp_lt_f32_e32 vcc_lo, v26, v2
	v_cndmask_b32_e32 v2, v2, v26, vcc_lo
; %bb.35:
	s_or_b32 exec_lo, exec_lo, s3
	s_wait_loadcnt 0x13
	v_and_b32_e32 v26, 1, v44
	s_mov_b32 s3, -1
	s_delay_alu instid0(VALU_DEP_1) | instskip(SKIP_1) | instid1(SALU_CYCLE_1)
	v_cmp_eq_u32_e32 vcc_lo, 1, v26
	s_and_b32 s5, s2, vcc_lo
	s_xor_b32 s5, s5, -1
	s_delay_alu instid0(SALU_CYCLE_1) | instskip(NEXT) | instid1(SALU_CYCLE_1)
	s_and_saveexec_b32 s6, s5
	s_xor_b32 s5, exec_lo, s6
	s_cbranch_execz .LBB10_39
; %bb.36:
	s_xor_b32 s6, s2, -1
	s_delay_alu instid0(SALU_CYCLE_1)
	s_and_saveexec_b32 s2, s6
	s_cbranch_execz .LBB10_38
; %bb.37:
	s_wait_loadcnt 0x10
	v_mov_b64_e32 v[2:3], v[24:25]
	s_or_not1_b32 s3, vcc_lo, exec_lo
.LBB10_38:
	s_or_b32 exec_lo, exec_lo, s2
                                        ; implicit-def: $vgpr24_vgpr25
.LBB10_39:
	s_and_not1_saveexec_b32 s2, s5
	s_cbranch_execz .LBB10_41
; %bb.40:
	s_wait_loadcnt 0x10
	s_delay_alu instid0(VALU_DEP_1)
	v_cmp_lt_f32_e32 vcc_lo, v3, v25
	s_or_b32 s3, s3, exec_lo
	v_cndmask_b32_e32 v3, v3, v25, vcc_lo
	v_cmp_lt_f32_e32 vcc_lo, v24, v2
	v_cndmask_b32_e32 v2, v2, v24, vcc_lo
.LBB10_41:
	s_or_b32 exec_lo, exec_lo, s2
	s_wait_loadcnt 0x10
	v_and_b32_e32 v24, 1, v43
	s_mov_b32 s2, -1
	s_delay_alu instid0(VALU_DEP_1) | instskip(SKIP_1) | instid1(SALU_CYCLE_1)
	v_cmp_eq_u32_e32 vcc_lo, 1, v24
	s_and_b32 s5, s3, vcc_lo
	s_xor_b32 s5, s5, -1
	s_delay_alu instid0(SALU_CYCLE_1) | instskip(NEXT) | instid1(SALU_CYCLE_1)
	s_and_saveexec_b32 s6, s5
	s_xor_b32 s5, exec_lo, s6
	s_cbranch_execz .LBB10_45
; %bb.42:
	s_xor_b32 s6, s3, -1
	s_delay_alu instid0(SALU_CYCLE_1)
	s_and_saveexec_b32 s3, s6
; %bb.43:
	v_mov_b64_e32 v[2:3], v[22:23]
	s_or_not1_b32 s2, vcc_lo, exec_lo
; %bb.44:
	s_or_b32 exec_lo, exec_lo, s3
                                        ; implicit-def: $vgpr22_vgpr23
.LBB10_45:
	s_and_not1_saveexec_b32 s3, s5
; %bb.46:
	s_delay_alu instid0(VALU_DEP_1)
	v_cmp_lt_f32_e32 vcc_lo, v3, v23
	s_or_b32 s2, s2, exec_lo
	v_cndmask_b32_e32 v3, v3, v23, vcc_lo
	v_cmp_lt_f32_e32 vcc_lo, v22, v2
	v_cndmask_b32_e32 v2, v2, v22, vcc_lo
; %bb.47:
	s_or_b32 exec_lo, exec_lo, s3
	s_wait_loadcnt 0xf
	v_and_b32_e32 v22, 1, v42
	s_mov_b32 s3, -1
	s_delay_alu instid0(VALU_DEP_1) | instskip(SKIP_1) | instid1(SALU_CYCLE_1)
	v_cmp_eq_u32_e32 vcc_lo, 1, v22
	s_and_b32 s5, s2, vcc_lo
	s_xor_b32 s5, s5, -1
	s_delay_alu instid0(SALU_CYCLE_1) | instskip(NEXT) | instid1(SALU_CYCLE_1)
	s_and_saveexec_b32 s6, s5
	s_xor_b32 s5, exec_lo, s6
	s_cbranch_execz .LBB10_51
; %bb.48:
	s_xor_b32 s6, s2, -1
	s_delay_alu instid0(SALU_CYCLE_1)
	s_and_saveexec_b32 s2, s6
	s_cbranch_execz .LBB10_50
; %bb.49:
	s_wait_loadcnt 0xc
	v_mov_b64_e32 v[2:3], v[20:21]
	s_or_not1_b32 s3, vcc_lo, exec_lo
.LBB10_50:
	s_or_b32 exec_lo, exec_lo, s2
                                        ; implicit-def: $vgpr20_vgpr21
.LBB10_51:
	s_and_not1_saveexec_b32 s2, s5
	s_cbranch_execz .LBB10_53
; %bb.52:
	s_wait_loadcnt 0xc
	s_delay_alu instid0(VALU_DEP_1)
	v_cmp_lt_f32_e32 vcc_lo, v3, v21
	s_or_b32 s3, s3, exec_lo
	v_cndmask_b32_e32 v3, v3, v21, vcc_lo
	v_cmp_lt_f32_e32 vcc_lo, v20, v2
	v_cndmask_b32_e32 v2, v2, v20, vcc_lo
.LBB10_53:
	s_or_b32 exec_lo, exec_lo, s2
	s_wait_loadcnt 0xc
	v_and_b32_e32 v20, 1, v41
	s_mov_b32 s2, -1
	s_delay_alu instid0(VALU_DEP_1) | instskip(SKIP_1) | instid1(SALU_CYCLE_1)
	v_cmp_eq_u32_e32 vcc_lo, 1, v20
	s_and_b32 s5, s3, vcc_lo
	s_xor_b32 s5, s5, -1
	s_delay_alu instid0(SALU_CYCLE_1) | instskip(NEXT) | instid1(SALU_CYCLE_1)
	s_and_saveexec_b32 s6, s5
	s_xor_b32 s5, exec_lo, s6
	s_cbranch_execz .LBB10_57
; %bb.54:
	s_xor_b32 s6, s3, -1
	s_delay_alu instid0(SALU_CYCLE_1)
	s_and_saveexec_b32 s3, s6
; %bb.55:
	v_mov_b64_e32 v[2:3], v[18:19]
	s_or_not1_b32 s2, vcc_lo, exec_lo
; %bb.56:
	s_or_b32 exec_lo, exec_lo, s3
                                        ; implicit-def: $vgpr18_vgpr19
.LBB10_57:
	s_and_not1_saveexec_b32 s3, s5
; %bb.58:
	s_delay_alu instid0(VALU_DEP_1)
	v_cmp_lt_f32_e32 vcc_lo, v3, v19
	s_or_b32 s2, s2, exec_lo
	v_cndmask_b32_e32 v3, v3, v19, vcc_lo
	v_cmp_lt_f32_e32 vcc_lo, v18, v2
	v_cndmask_b32_e32 v2, v2, v18, vcc_lo
; %bb.59:
	s_or_b32 exec_lo, exec_lo, s3
	s_wait_loadcnt 0xb
	v_and_b32_e32 v18, 1, v40
	s_mov_b32 s3, -1
	s_delay_alu instid0(VALU_DEP_1) | instskip(SKIP_1) | instid1(SALU_CYCLE_1)
	v_cmp_eq_u32_e32 vcc_lo, 1, v18
	s_and_b32 s5, s2, vcc_lo
	s_xor_b32 s5, s5, -1
	s_delay_alu instid0(SALU_CYCLE_1) | instskip(NEXT) | instid1(SALU_CYCLE_1)
	s_and_saveexec_b32 s6, s5
	s_xor_b32 s5, exec_lo, s6
	s_cbranch_execz .LBB10_63
; %bb.60:
	s_xor_b32 s6, s2, -1
	s_delay_alu instid0(SALU_CYCLE_1)
	s_and_saveexec_b32 s2, s6
	s_cbranch_execz .LBB10_62
; %bb.61:
	s_wait_loadcnt 0x8
	v_mov_b64_e32 v[2:3], v[16:17]
	s_or_not1_b32 s3, vcc_lo, exec_lo
.LBB10_62:
	s_or_b32 exec_lo, exec_lo, s2
                                        ; implicit-def: $vgpr16_vgpr17
.LBB10_63:
	s_and_not1_saveexec_b32 s2, s5
	s_cbranch_execz .LBB10_65
; %bb.64:
	s_wait_loadcnt 0x8
	s_delay_alu instid0(VALU_DEP_1)
	v_cmp_lt_f32_e32 vcc_lo, v3, v17
	s_or_b32 s3, s3, exec_lo
	v_cndmask_b32_e32 v3, v3, v17, vcc_lo
	v_cmp_lt_f32_e32 vcc_lo, v16, v2
	v_cndmask_b32_e32 v2, v2, v16, vcc_lo
.LBB10_65:
	s_or_b32 exec_lo, exec_lo, s2
	s_wait_loadcnt 0x8
	v_and_b32_e32 v16, 1, v39
	s_mov_b32 s2, -1
	s_delay_alu instid0(VALU_DEP_1) | instskip(SKIP_1) | instid1(SALU_CYCLE_1)
	v_cmp_eq_u32_e32 vcc_lo, 1, v16
	s_and_b32 s5, s3, vcc_lo
	s_xor_b32 s5, s5, -1
	s_delay_alu instid0(SALU_CYCLE_1) | instskip(NEXT) | instid1(SALU_CYCLE_1)
	s_and_saveexec_b32 s6, s5
	s_xor_b32 s5, exec_lo, s6
	s_cbranch_execz .LBB10_69
; %bb.66:
	s_xor_b32 s6, s3, -1
	s_delay_alu instid0(SALU_CYCLE_1)
	s_and_saveexec_b32 s3, s6
; %bb.67:
	v_mov_b64_e32 v[2:3], v[14:15]
	s_or_not1_b32 s2, vcc_lo, exec_lo
; %bb.68:
	s_or_b32 exec_lo, exec_lo, s3
                                        ; implicit-def: $vgpr14_vgpr15
.LBB10_69:
	s_and_not1_saveexec_b32 s3, s5
; %bb.70:
	s_delay_alu instid0(VALU_DEP_1)
	v_cmp_lt_f32_e32 vcc_lo, v3, v15
	s_or_b32 s2, s2, exec_lo
	v_cndmask_b32_e32 v3, v3, v15, vcc_lo
	v_cmp_lt_f32_e32 vcc_lo, v14, v2
	v_cndmask_b32_e32 v2, v2, v14, vcc_lo
; %bb.71:
	s_or_b32 exec_lo, exec_lo, s3
	s_wait_loadcnt 0x7
	v_and_b32_e32 v14, 1, v38
	s_mov_b32 s3, -1
	s_delay_alu instid0(VALU_DEP_1) | instskip(SKIP_1) | instid1(SALU_CYCLE_1)
	v_cmp_eq_u32_e32 vcc_lo, 1, v14
	s_and_b32 s5, s2, vcc_lo
	s_xor_b32 s5, s5, -1
	s_delay_alu instid0(SALU_CYCLE_1) | instskip(NEXT) | instid1(SALU_CYCLE_1)
	s_and_saveexec_b32 s6, s5
	s_xor_b32 s5, exec_lo, s6
	s_cbranch_execz .LBB10_75
; %bb.72:
	s_xor_b32 s6, s2, -1
	s_delay_alu instid0(SALU_CYCLE_1)
	s_and_saveexec_b32 s2, s6
	s_cbranch_execz .LBB10_74
; %bb.73:
	s_wait_loadcnt 0x4
	v_mov_b64_e32 v[2:3], v[12:13]
	s_or_not1_b32 s3, vcc_lo, exec_lo
.LBB10_74:
	s_or_b32 exec_lo, exec_lo, s2
                                        ; implicit-def: $vgpr12_vgpr13
.LBB10_75:
	s_and_not1_saveexec_b32 s2, s5
	s_cbranch_execz .LBB10_77
; %bb.76:
	s_wait_loadcnt 0x4
	s_delay_alu instid0(VALU_DEP_1)
	v_cmp_lt_f32_e32 vcc_lo, v3, v13
	s_or_b32 s3, s3, exec_lo
	v_cndmask_b32_e32 v3, v3, v13, vcc_lo
	v_cmp_lt_f32_e32 vcc_lo, v12, v2
	v_cndmask_b32_e32 v2, v2, v12, vcc_lo
.LBB10_77:
	s_or_b32 exec_lo, exec_lo, s2
	s_wait_loadcnt 0x4
	v_and_b32_e32 v12, 1, v37
	s_mov_b32 s2, -1
	s_delay_alu instid0(VALU_DEP_1) | instskip(SKIP_1) | instid1(SALU_CYCLE_1)
	v_cmp_eq_u32_e32 vcc_lo, 1, v12
	s_and_b32 s5, s3, vcc_lo
	s_xor_b32 s5, s5, -1
	s_delay_alu instid0(SALU_CYCLE_1) | instskip(NEXT) | instid1(SALU_CYCLE_1)
	s_and_saveexec_b32 s6, s5
	s_xor_b32 s5, exec_lo, s6
	s_cbranch_execz .LBB10_81
; %bb.78:
	s_xor_b32 s6, s3, -1
	s_delay_alu instid0(SALU_CYCLE_1)
	s_and_saveexec_b32 s3, s6
; %bb.79:
	v_mov_b64_e32 v[2:3], v[10:11]
	s_or_not1_b32 s2, vcc_lo, exec_lo
; %bb.80:
	s_or_b32 exec_lo, exec_lo, s3
                                        ; implicit-def: $vgpr10_vgpr11
.LBB10_81:
	s_and_not1_saveexec_b32 s3, s5
; %bb.82:
	s_delay_alu instid0(VALU_DEP_1)
	v_cmp_lt_f32_e32 vcc_lo, v3, v11
	s_or_b32 s2, s2, exec_lo
	v_cndmask_b32_e32 v3, v3, v11, vcc_lo
	v_cmp_lt_f32_e32 vcc_lo, v10, v2
	v_cndmask_b32_e32 v2, v2, v10, vcc_lo
; %bb.83:
	s_or_b32 exec_lo, exec_lo, s3
	s_wait_loadcnt 0x3
	v_and_b32_e32 v10, 1, v36
	s_mov_b32 s3, -1
	s_delay_alu instid0(VALU_DEP_1) | instskip(SKIP_1) | instid1(SALU_CYCLE_1)
	v_cmp_eq_u32_e32 vcc_lo, 1, v10
	s_and_b32 s5, s2, vcc_lo
	s_xor_b32 s5, s5, -1
	s_delay_alu instid0(SALU_CYCLE_1) | instskip(NEXT) | instid1(SALU_CYCLE_1)
	s_and_saveexec_b32 s6, s5
	s_xor_b32 s5, exec_lo, s6
	s_cbranch_execz .LBB10_87
; %bb.84:
	s_xor_b32 s6, s2, -1
	s_delay_alu instid0(SALU_CYCLE_1)
	s_and_saveexec_b32 s2, s6
	s_cbranch_execz .LBB10_86
; %bb.85:
	s_wait_loadcnt 0x0
	v_mov_b64_e32 v[2:3], v[8:9]
	s_or_not1_b32 s3, vcc_lo, exec_lo
.LBB10_86:
	s_or_b32 exec_lo, exec_lo, s2
                                        ; implicit-def: $vgpr8_vgpr9
.LBB10_87:
	s_and_not1_saveexec_b32 s2, s5
	s_cbranch_execz .LBB10_89
; %bb.88:
	s_wait_loadcnt 0x0
	s_delay_alu instid0(VALU_DEP_1)
	v_cmp_lt_f32_e32 vcc_lo, v3, v9
	s_or_b32 s3, s3, exec_lo
	v_cndmask_b32_e32 v3, v3, v9, vcc_lo
	v_cmp_lt_f32_e32 vcc_lo, v8, v2
	v_cndmask_b32_e32 v2, v2, v8, vcc_lo
.LBB10_89:
	s_or_b32 exec_lo, exec_lo, s2
	s_wait_loadcnt 0x0
	v_and_b32_e32 v8, 1, v1
	s_delay_alu instid0(VALU_DEP_1) | instskip(SKIP_1) | instid1(SALU_CYCLE_1)
	v_cmp_eq_u32_e32 vcc_lo, 1, v8
                                        ; implicit-def: $vgpr8
	s_and_b32 s2, s3, vcc_lo
	s_xor_b32 s2, s2, -1
	s_delay_alu instid0(SALU_CYCLE_1) | instskip(NEXT) | instid1(SALU_CYCLE_1)
	s_and_saveexec_b32 s5, s2
	s_xor_b32 s2, exec_lo, s5
	s_cbranch_execz .LBB10_93
; %bb.90:
	v_mov_b32_e32 v8, 1
	s_xor_b32 s5, s3, -1
	s_delay_alu instid0(SALU_CYCLE_1)
	s_and_saveexec_b32 s3, s5
; %bb.91:
	v_mov_b64_e32 v[2:3], v[6:7]
	v_mov_b32_e32 v8, v1
; %bb.92:
	s_or_b32 exec_lo, exec_lo, s3
                                        ; implicit-def: $vgpr6_vgpr7
.LBB10_93:
	s_and_not1_saveexec_b32 s2, s2
; %bb.94:
	s_delay_alu instid0(VALU_DEP_2) | instskip(SKIP_1) | instid1(VALU_DEP_4)
	v_cmp_lt_f32_e32 vcc_lo, v3, v7
	v_dual_mov_b32 v8, 1 :: v_dual_cndmask_b32 v3, v3, v7
	v_cmp_lt_f32_e32 vcc_lo, v6, v2
	v_cndmask_b32_e32 v2, v2, v6, vcc_lo
; %bb.95:
	s_or_b32 exec_lo, exec_lo, s2
	s_delay_alu instid0(VALU_DEP_3) | instskip(SKIP_2) | instid1(VALU_DEP_3)
	v_and_b32_e32 v9, 0xff, v8
	v_and_b32_e32 v6, 1, v8
	v_mov_b32_dpp v7, v3 quad_perm:[1,0,3,2] row_mask:0xf bank_mask:0xf
	v_mov_b32_dpp v1, v9 quad_perm:[1,0,3,2] row_mask:0xf bank_mask:0xf
	s_delay_alu instid0(VALU_DEP_3) | instskip(SKIP_1) | instid1(VALU_DEP_3)
	v_cmp_eq_u32_e64 s2, 1, v6
	v_mov_b32_dpp v6, v2 quad_perm:[1,0,3,2] row_mask:0xf bank_mask:0xf
	v_and_b32_e32 v1, 1, v1
	s_delay_alu instid0(VALU_DEP_1) | instskip(SKIP_1) | instid1(SALU_CYCLE_1)
	v_cmp_eq_u32_e32 vcc_lo, 1, v1
                                        ; implicit-def: $vgpr1
	s_and_b32 s2, vcc_lo, s2
	s_xor_b32 s2, s2, -1
	s_delay_alu instid0(SALU_CYCLE_1) | instskip(NEXT) | instid1(SALU_CYCLE_1)
	s_and_saveexec_b32 s3, s2
	s_xor_b32 s2, exec_lo, s3
	s_cbranch_execz .LBB10_99
; %bb.96:
	v_mov_b32_e32 v1, 1
	s_xor_b32 s5, vcc_lo, -1
	s_delay_alu instid0(SALU_CYCLE_1)
	s_and_saveexec_b32 s3, s5
; %bb.97:
	v_mov_b64_e32 v[6:7], v[2:3]
	v_mov_b32_e32 v1, v9
; %bb.98:
	s_or_b32 exec_lo, exec_lo, s3
                                        ; implicit-def: $vgpr2_vgpr3
.LBB10_99:
	s_and_not1_saveexec_b32 s2, s2
; %bb.100:
	s_delay_alu instid0(VALU_DEP_2) | instskip(SKIP_1) | instid1(VALU_DEP_4)
	v_cmp_lt_f32_e32 vcc_lo, v7, v3
	v_dual_mov_b32 v1, 1 :: v_dual_cndmask_b32 v7, v7, v3, vcc_lo
	v_cmp_lt_f32_e32 vcc_lo, v2, v6
	v_cndmask_b32_e32 v6, v6, v2, vcc_lo
; %bb.101:
	s_or_b32 exec_lo, exec_lo, s2
	s_delay_alu instid0(VALU_DEP_3) | instskip(NEXT) | instid1(VALU_DEP_1)
	v_mov_b32_dpp v2, v1 quad_perm:[2,3,0,1] row_mask:0xf bank_mask:0xf
	v_and_b32_e32 v3, v2, v1
	v_and_b32_e32 v8, 1, v2
	v_mov_b32_dpp v2, v6 quad_perm:[2,3,0,1] row_mask:0xf bank_mask:0xf
	s_delay_alu instid0(VALU_DEP_3) | instskip(SKIP_1) | instid1(VALU_DEP_4)
	v_and_b32_e32 v9, 1, v3
	v_mov_b32_dpp v3, v7 quad_perm:[2,3,0,1] row_mask:0xf bank_mask:0xf
	v_cmp_ne_u32_e32 vcc_lo, 1, v8
                                        ; implicit-def: $vgpr8
	s_delay_alu instid0(VALU_DEP_3) | instskip(SKIP_1) | instid1(SALU_CYCLE_1)
	v_cmp_ne_u32_e64 s2, 1, v9
	s_and_saveexec_b32 s3, s2
	s_xor_b32 s2, exec_lo, s3
	s_cbranch_execz .LBB10_105
; %bb.102:
	v_mov_b32_e32 v8, 1
	s_and_saveexec_b32 s3, vcc_lo
; %bb.103:
	v_mov_b64_e32 v[2:3], v[6:7]
	v_mov_b32_e32 v8, v1
; %bb.104:
	s_or_b32 exec_lo, exec_lo, s3
                                        ; implicit-def: $vgpr6_vgpr7
.LBB10_105:
	s_and_not1_saveexec_b32 s2, s2
; %bb.106:
	s_delay_alu instid0(VALU_DEP_2) | instskip(SKIP_1) | instid1(VALU_DEP_4)
	v_cmp_lt_f32_e32 vcc_lo, v3, v7
	v_dual_mov_b32 v8, 1 :: v_dual_cndmask_b32 v3, v3, v7
	v_cmp_lt_f32_e32 vcc_lo, v6, v2
	v_cndmask_b32_e32 v2, v2, v6, vcc_lo
; %bb.107:
	s_or_b32 exec_lo, exec_lo, s2
	s_delay_alu instid0(VALU_DEP_3) | instskip(SKIP_1) | instid1(VALU_DEP_2)
	v_mov_b32_dpp v1, v8 row_ror:4 row_mask:0xf bank_mask:0xf
	v_mov_b32_dpp v7, v3 row_ror:4 row_mask:0xf bank_mask:0xf
	v_and_b32_e32 v6, v1, v8
	v_and_b32_e32 v1, 1, v1
	s_delay_alu instid0(VALU_DEP_2) | instskip(SKIP_1) | instid1(VALU_DEP_3)
	v_and_b32_e32 v9, 1, v6
	v_mov_b32_dpp v6, v2 row_ror:4 row_mask:0xf bank_mask:0xf
	v_cmp_ne_u32_e32 vcc_lo, 1, v1
                                        ; implicit-def: $vgpr1
	s_delay_alu instid0(VALU_DEP_3) | instskip(SKIP_1) | instid1(SALU_CYCLE_1)
	v_cmp_ne_u32_e64 s2, 1, v9
	s_and_saveexec_b32 s3, s2
	s_xor_b32 s2, exec_lo, s3
	s_cbranch_execz .LBB10_111
; %bb.108:
	v_mov_b32_e32 v1, 1
	s_and_saveexec_b32 s3, vcc_lo
; %bb.109:
	v_mov_b64_e32 v[6:7], v[2:3]
	v_mov_b32_e32 v1, v8
; %bb.110:
	s_or_b32 exec_lo, exec_lo, s3
                                        ; implicit-def: $vgpr2_vgpr3
.LBB10_111:
	s_and_not1_saveexec_b32 s2, s2
; %bb.112:
	s_delay_alu instid0(VALU_DEP_2) | instskip(SKIP_1) | instid1(VALU_DEP_4)
	v_cmp_lt_f32_e32 vcc_lo, v7, v3
	v_dual_mov_b32 v1, 1 :: v_dual_cndmask_b32 v7, v7, v3, vcc_lo
	v_cmp_lt_f32_e32 vcc_lo, v2, v6
	v_cndmask_b32_e32 v6, v6, v2, vcc_lo
; %bb.113:
	s_or_b32 exec_lo, exec_lo, s2
	s_delay_alu instid0(VALU_DEP_3) | instskip(NEXT) | instid1(VALU_DEP_1)
	v_mov_b32_dpp v2, v1 row_ror:8 row_mask:0xf bank_mask:0xf
	v_and_b32_e32 v3, v2, v1
	v_and_b32_e32 v8, 1, v2
	v_mov_b32_dpp v2, v6 row_ror:8 row_mask:0xf bank_mask:0xf
	s_delay_alu instid0(VALU_DEP_3) | instskip(SKIP_1) | instid1(VALU_DEP_4)
	v_and_b32_e32 v9, 1, v3
	v_mov_b32_dpp v3, v7 row_ror:8 row_mask:0xf bank_mask:0xf
	v_cmp_ne_u32_e32 vcc_lo, 1, v8
                                        ; implicit-def: $vgpr8
	s_delay_alu instid0(VALU_DEP_3) | instskip(SKIP_1) | instid1(SALU_CYCLE_1)
	v_cmp_ne_u32_e64 s2, 1, v9
	s_and_saveexec_b32 s3, s2
	s_xor_b32 s2, exec_lo, s3
	s_cbranch_execz .LBB10_117
; %bb.114:
	v_mov_b32_e32 v8, 1
	s_and_saveexec_b32 s3, vcc_lo
; %bb.115:
	v_mov_b64_e32 v[2:3], v[6:7]
	v_mov_b32_e32 v8, v1
; %bb.116:
	s_or_b32 exec_lo, exec_lo, s3
                                        ; implicit-def: $vgpr6_vgpr7
.LBB10_117:
	s_and_not1_saveexec_b32 s2, s2
; %bb.118:
	s_delay_alu instid0(VALU_DEP_2) | instskip(SKIP_1) | instid1(VALU_DEP_4)
	v_cmp_lt_f32_e32 vcc_lo, v3, v7
	v_dual_mov_b32 v8, 1 :: v_dual_cndmask_b32 v3, v3, v7
	v_cmp_lt_f32_e32 vcc_lo, v6, v2
	v_cndmask_b32_e32 v2, v2, v6, vcc_lo
; %bb.119:
	s_or_b32 exec_lo, exec_lo, s2
	ds_swizzle_b32 v1, v8 offset:swizzle(BROADCAST,32,15)
	ds_swizzle_b32 v6, v2 offset:swizzle(BROADCAST,32,15)
	ds_swizzle_b32 v7, v3 offset:swizzle(BROADCAST,32,15)
	s_wait_dscnt 0x2
	v_and_b32_e32 v9, v1, v8
	v_and_b32_e32 v1, 1, v1
	s_delay_alu instid0(VALU_DEP_2) | instskip(NEXT) | instid1(VALU_DEP_2)
	v_and_b32_e32 v9, 1, v9
	v_cmp_ne_u32_e32 vcc_lo, 1, v1
                                        ; implicit-def: $vgpr1
	s_delay_alu instid0(VALU_DEP_2) | instskip(SKIP_1) | instid1(SALU_CYCLE_1)
	v_cmp_ne_u32_e64 s2, 1, v9
	s_and_saveexec_b32 s3, s2
	s_xor_b32 s2, exec_lo, s3
	s_cbranch_execz .LBB10_123
; %bb.120:
	v_mov_b32_e32 v1, 1
	s_and_saveexec_b32 s3, vcc_lo
	s_cbranch_execz .LBB10_122
; %bb.121:
	s_wait_dscnt 0x0
	v_mov_b64_e32 v[6:7], v[2:3]
	v_mov_b32_e32 v1, v8
.LBB10_122:
	s_or_b32 exec_lo, exec_lo, s3
                                        ; implicit-def: $vgpr2_vgpr3
.LBB10_123:
	s_and_not1_saveexec_b32 s2, s2
	s_cbranch_execz .LBB10_125
; %bb.124:
	s_wait_dscnt 0x0
	s_delay_alu instid0(VALU_DEP_2)
	v_cmp_lt_f32_e32 vcc_lo, v7, v3
	v_dual_mov_b32 v1, 1 :: v_dual_cndmask_b32 v7, v7, v3, vcc_lo
	v_cmp_lt_f32_e32 vcc_lo, v2, v6
	v_cndmask_b32_e32 v6, v6, v2, vcc_lo
.LBB10_125:
	s_or_b32 exec_lo, exec_lo, s2
	v_mov_b32_e32 v3, 0
	v_mbcnt_lo_u32_b32 v8, -1, 0
	s_mov_b32 s2, exec_lo
	ds_bpermute_b32 v1, v3, v1 offset:124
	s_wait_dscnt 0x2
	ds_bpermute_b32 v2, v3, v6 offset:124
	s_wait_dscnt 0x2
	ds_bpermute_b32 v3, v3, v7 offset:124
	v_cmpx_eq_u32_e32 0, v8
	s_cbranch_execz .LBB10_127
; %bb.126:
	v_lshrrev_b32_e32 v6, 5, v0
	s_delay_alu instid0(VALU_DEP_1)
	v_mul_u32_u24_e32 v6, 12, v6
	s_wait_dscnt 0x2
	ds_store_b8 v6, v1 offset:48
	s_wait_dscnt 0x1
	ds_store_2addr_b32 v6, v2, v3 offset0:13 offset1:14
.LBB10_127:
	s_or_b32 exec_lo, exec_lo, s2
	s_delay_alu instid0(SALU_CYCLE_1)
	s_mov_b32 s2, exec_lo
	s_wait_dscnt 0x0
	s_barrier_signal -1
	s_barrier_wait -1
	v_cmpx_gt_u32_e32 32, v0
	s_cbranch_execz .LBB10_141
; %bb.128:
	v_and_b32_e32 v1, 3, v8
	s_mov_b32 s3, exec_lo
	s_delay_alu instid0(VALU_DEP_1)
	v_mul_u32_u24_e32 v2, 12, v1
	v_cmp_ne_u32_e32 vcc_lo, 3, v1
	ds_load_u8 v10, v2 offset:48
	v_add_co_ci_u32_e64 v1, null, 0, v8, vcc_lo
	ds_load_2addr_b32 v[2:3], v2 offset0:13 offset1:14
	v_lshlrev_b32_e32 v7, 2, v1
	s_wait_dscnt 0x1
	v_and_b32_e32 v6, 0xff, v10
	ds_bpermute_b32 v1, v7, v6
	s_wait_dscnt 0x0
	v_and_b32_e32 v9, v10, v1
	ds_bpermute_b32 v6, v7, v2
	ds_bpermute_b32 v7, v7, v3
	v_and_b32_e32 v9, 1, v9
	s_delay_alu instid0(VALU_DEP_1)
	v_cmpx_eq_u32_e32 1, v9
	s_xor_b32 s3, exec_lo, s3
	s_cbranch_execz .LBB10_130
; %bb.129:
	s_wait_dscnt 0x0
	v_cmp_gt_f32_e32 vcc_lo, v7, v3
                                        ; implicit-def: $vgpr1
                                        ; implicit-def: $vgpr10
	v_cndmask_b32_e32 v7, v3, v7, vcc_lo
	v_cmp_gt_f32_e32 vcc_lo, v2, v6
	v_cndmask_b32_e32 v6, v2, v6, vcc_lo
                                        ; implicit-def: $vgpr2_vgpr3
.LBB10_130:
	s_or_saveexec_b32 s3, s3
	v_dual_mov_b32 v9, 1 :: v_dual_lshlrev_b32 v8, 2, v8
	s_xor_b32 exec_lo, exec_lo, s3
	s_cbranch_execz .LBB10_134
; %bb.131:
	v_and_b32_e32 v9, 1, v10
	s_mov_b32 s5, exec_lo
	s_delay_alu instid0(VALU_DEP_1)
	v_cmpx_eq_u32_e32 1, v9
	s_cbranch_execz .LBB10_133
; %bb.132:
	s_wait_dscnt 0x0
	v_mov_b64_e32 v[6:7], v[2:3]
	v_mov_b32_e32 v1, 1
.LBB10_133:
	s_or_b32 exec_lo, exec_lo, s5
	s_delay_alu instid0(VALU_DEP_1)
	v_mov_b32_e32 v9, v1
.LBB10_134:
	s_or_b32 exec_lo, exec_lo, s3
	s_delay_alu instid0(VALU_DEP_1)
	v_and_b32_e32 v1, 0xff, v9
	v_or_b32_e32 v3, 8, v8
	s_mov_b32 s3, exec_lo
	ds_bpermute_b32 v8, v3, v1
	s_wait_dscnt 0x2
	ds_bpermute_b32 v2, v3, v6
	s_wait_dscnt 0x2
	;; [unrolled: 2-line block ×3, first 2 shown]
	v_and_b32_e32 v1, v9, v8
	s_delay_alu instid0(VALU_DEP_1) | instskip(NEXT) | instid1(VALU_DEP_1)
	v_and_b32_e32 v1, 1, v1
	v_cmpx_eq_u32_e32 1, v1
	s_xor_b32 s3, exec_lo, s3
	s_cbranch_execz .LBB10_136
; %bb.135:
	s_wait_dscnt 0x0
	v_cmp_gt_f32_e32 vcc_lo, v3, v7
                                        ; implicit-def: $vgpr8
                                        ; implicit-def: $vgpr9
	v_cndmask_b32_e32 v3, v7, v3, vcc_lo
	v_cmp_gt_f32_e32 vcc_lo, v6, v2
	v_cndmask_b32_e32 v2, v6, v2, vcc_lo
                                        ; implicit-def: $vgpr6_vgpr7
.LBB10_136:
	s_or_saveexec_b32 s3, s3
	v_mov_b32_e32 v1, 1
	s_xor_b32 exec_lo, exec_lo, s3
	s_cbranch_execz .LBB10_140
; %bb.137:
	v_and_b32_e32 v1, 1, v9
	s_mov_b32 s5, exec_lo
	s_delay_alu instid0(VALU_DEP_1)
	v_cmpx_eq_u32_e32 1, v1
	s_cbranch_execz .LBB10_139
; %bb.138:
	s_wait_dscnt 0x0
	v_mov_b64_e32 v[2:3], v[6:7]
	v_mov_b32_e32 v8, 1
.LBB10_139:
	s_or_b32 exec_lo, exec_lo, s5
	s_delay_alu instid0(VALU_DEP_1)
	v_mov_b32_e32 v1, v8
.LBB10_140:
	s_or_b32 exec_lo, exec_lo, s3
.LBB10_141:
	s_delay_alu instid0(SALU_CYCLE_1)
	s_or_b32 exec_lo, exec_lo, s2
	s_mov_b32 s2, 0
	s_branch .LBB10_239
.LBB10_142:
	s_mov_b32 s9, 0
                                        ; implicit-def: $vgpr4_vgpr5
                                        ; implicit-def: $vgpr7
                                        ; implicit-def: $sgpr24_sgpr25
	s_cbranch_execnz .LBB10_779
	s_branch .LBB10_970
.LBB10_143:
	s_mov_b32 s9, 0
                                        ; implicit-def: $vgpr4_vgpr5
                                        ; implicit-def: $vgpr7
                                        ; implicit-def: $sgpr24_sgpr25
	s_cbranch_execnz .LBB10_607
	s_branch .LBB10_675
.LBB10_144:
	s_mov_b32 s27, -1
.LBB10_145:
	s_mov_b32 s9, 0
                                        ; implicit-def: $vgpr4_vgpr5
                                        ; implicit-def: $vgpr7
                                        ; implicit-def: $sgpr24_sgpr25
	s_and_b32 vcc_lo, exec_lo, s27
	s_cbranch_vccz .LBB10_486
.LBB10_146:
	s_cmp_eq_u32 s26, 8
	s_cbranch_scc0 .LBB10_237
; %bb.147:
	s_bfe_u32 s2, ttmp6, 0x4000c
	s_and_b32 s3, ttmp6, 15
	s_add_co_i32 s2, s2, 1
	s_getreg_b32 s4, hwreg(HW_REG_IB_STS2, 6, 4)
	s_mul_i32 s2, ttmp9, s2
	s_mov_b32 s25, 0
	s_add_co_i32 s3, s3, s2
	s_cmp_eq_u32 s4, 0
	s_mov_b32 s5, s25
	s_cselect_b32 s24, ttmp9, s3
	s_delay_alu instid0(SALU_CYCLE_1) | instskip(NEXT) | instid1(SALU_CYCLE_1)
	s_lshl_b32 s4, s24, 10
	s_mul_u64 s[2:3], s[4:5], 12
	s_delay_alu instid0(SALU_CYCLE_1) | instskip(SKIP_3) | instid1(SALU_CYCLE_1)
	s_add_nc_u64 s[2:3], s[20:21], s[2:3]
	s_wait_dscnt 0x0
	v_mad_nc_u64_u32 v[4:5], v0, 12, s[2:3]
	s_lshr_b64 s[2:3], s[22:23], 10
	s_cmp_lg_u64 s[2:3], s[24:25]
	s_cbranch_scc0 .LBB10_286
; %bb.148:
	s_clause 0xf
	global_load_u8 v26, v[4:5], off
	global_load_u8 v25, v[4:5], off offset:1536
	global_load_b64 v[18:19], v[4:5], off offset:1540
	global_load_b64 v[2:3], v[4:5], off offset:4
	global_load_u8 v24, v[4:5], off offset:3072
	global_load_u8 v23, v[4:5], off offset:4608
	global_load_b64 v[14:15], v[4:5], off offset:4612
	global_load_b64 v[16:17], v[4:5], off offset:3076
	global_load_u8 v22, v[4:5], off offset:6144
	;; [unrolled: 4-line block ×3, first 2 shown]
	global_load_u8 v1, v[4:5], off offset:10752
	global_load_b64 v[6:7], v[4:5], off offset:10756
	global_load_b64 v[8:9], v[4:5], off offset:9220
	s_mov_b32 s2, exec_lo
	s_wait_loadcnt 0xe
	v_and_b32_e32 v27, v25, v26
	s_delay_alu instid0(VALU_DEP_1) | instskip(SKIP_1) | instid1(VALU_DEP_1)
	v_and_b32_e32 v27, 1, v27
	s_wait_xcnt 0x0
	v_cmpx_eq_u32_e32 1, v27
	s_xor_b32 s2, exec_lo, s2
	s_cbranch_execz .LBB10_150
; %bb.149:
	s_wait_loadcnt 0xc
	v_cmp_lt_f32_e32 vcc_lo, v3, v19
                                        ; implicit-def: $vgpr26
                                        ; implicit-def: $vgpr25
	v_cndmask_b32_e32 v3, v3, v19, vcc_lo
	v_cmp_lt_f32_e32 vcc_lo, v18, v2
	v_cndmask_b32_e32 v2, v2, v18, vcc_lo
                                        ; implicit-def: $vgpr18_vgpr19
.LBB10_150:
	s_or_saveexec_b32 s2, s2
	s_mov_b32 s5, -1
	s_xor_b32 exec_lo, exec_lo, s2
	s_cbranch_execz .LBB10_154
; %bb.151:
	v_and_b32_e32 v26, 1, v26
	s_mov_b32 s3, -1
	s_delay_alu instid0(VALU_DEP_1) | instskip(SKIP_1) | instid1(SALU_CYCLE_1)
	v_cmp_eq_u32_e32 vcc_lo, 1, v26
	s_xor_b32 s6, vcc_lo, -1
	s_and_saveexec_b32 s5, s6
	s_cbranch_execz .LBB10_153
; %bb.152:
	s_wait_loadcnt 0xc
	v_and_b32_e32 v2, 1, v25
	s_delay_alu instid0(VALU_DEP_1)
	v_cmp_eq_u32_e32 vcc_lo, 1, v2
	v_mov_b64_e32 v[2:3], v[18:19]
	s_or_not1_b32 s3, vcc_lo, exec_lo
.LBB10_153:
	s_or_b32 exec_lo, exec_lo, s5
	s_delay_alu instid0(SALU_CYCLE_1)
	s_or_not1_b32 s5, s3, exec_lo
.LBB10_154:
	s_or_b32 exec_lo, exec_lo, s2
	s_wait_loadcnt 0xb
	v_and_b32_e32 v18, 1, v24
                                        ; implicit-def: $sgpr3
	s_delay_alu instid0(VALU_DEP_1) | instskip(SKIP_1) | instid1(SALU_CYCLE_1)
	v_cmp_eq_u32_e32 vcc_lo, 1, v18
	s_and_b32 s2, s5, vcc_lo
	s_xor_b32 s2, s2, -1
	s_delay_alu instid0(SALU_CYCLE_1) | instskip(NEXT) | instid1(SALU_CYCLE_1)
	s_and_saveexec_b32 s6, s2
	s_xor_b32 s2, exec_lo, s6
	s_cbranch_execz .LBB10_158
; %bb.155:
	s_xor_b32 s6, s5, -1
	s_mov_b32 s3, -1
	s_and_saveexec_b32 s5, s6
	s_cbranch_execz .LBB10_157
; %bb.156:
	s_wait_loadcnt 0x8
	v_mov_b64_e32 v[2:3], v[16:17]
	s_or_not1_b32 s3, vcc_lo, exec_lo
.LBB10_157:
	s_or_b32 exec_lo, exec_lo, s5
                                        ; implicit-def: $vgpr16_vgpr17
.LBB10_158:
	s_and_not1_saveexec_b32 s2, s2
	s_cbranch_execz .LBB10_160
; %bb.159:
	s_wait_loadcnt 0x8
	s_delay_alu instid0(VALU_DEP_1)
	v_cmp_lt_f32_e32 vcc_lo, v3, v17
	s_or_b32 s3, s3, exec_lo
	v_cndmask_b32_e32 v3, v3, v17, vcc_lo
	v_cmp_lt_f32_e32 vcc_lo, v16, v2
	v_cndmask_b32_e32 v2, v2, v16, vcc_lo
.LBB10_160:
	s_or_b32 exec_lo, exec_lo, s2
	s_wait_loadcnt 0x8
	v_and_b32_e32 v16, 1, v23
	s_mov_b32 s2, -1
	s_delay_alu instid0(VALU_DEP_1) | instskip(SKIP_1) | instid1(SALU_CYCLE_1)
	v_cmp_eq_u32_e32 vcc_lo, 1, v16
	s_and_b32 s5, s3, vcc_lo
	s_xor_b32 s5, s5, -1
	s_delay_alu instid0(SALU_CYCLE_1) | instskip(NEXT) | instid1(SALU_CYCLE_1)
	s_and_saveexec_b32 s6, s5
	s_xor_b32 s5, exec_lo, s6
	s_cbranch_execz .LBB10_164
; %bb.161:
	s_xor_b32 s6, s3, -1
	s_delay_alu instid0(SALU_CYCLE_1)
	s_and_saveexec_b32 s3, s6
; %bb.162:
	v_mov_b64_e32 v[2:3], v[14:15]
	s_or_not1_b32 s2, vcc_lo, exec_lo
; %bb.163:
	s_or_b32 exec_lo, exec_lo, s3
                                        ; implicit-def: $vgpr14_vgpr15
.LBB10_164:
	s_and_not1_saveexec_b32 s3, s5
; %bb.165:
	s_delay_alu instid0(VALU_DEP_1)
	v_cmp_lt_f32_e32 vcc_lo, v3, v15
	s_or_b32 s2, s2, exec_lo
	v_cndmask_b32_e32 v3, v3, v15, vcc_lo
	v_cmp_lt_f32_e32 vcc_lo, v14, v2
	v_cndmask_b32_e32 v2, v2, v14, vcc_lo
; %bb.166:
	s_or_b32 exec_lo, exec_lo, s3
	s_wait_loadcnt 0x7
	v_and_b32_e32 v14, 1, v22
	s_mov_b32 s3, -1
	s_delay_alu instid0(VALU_DEP_1) | instskip(SKIP_1) | instid1(SALU_CYCLE_1)
	v_cmp_eq_u32_e32 vcc_lo, 1, v14
	s_and_b32 s5, s2, vcc_lo
	s_xor_b32 s5, s5, -1
	s_delay_alu instid0(SALU_CYCLE_1) | instskip(NEXT) | instid1(SALU_CYCLE_1)
	s_and_saveexec_b32 s6, s5
	s_xor_b32 s5, exec_lo, s6
	s_cbranch_execz .LBB10_170
; %bb.167:
	s_xor_b32 s6, s2, -1
	s_delay_alu instid0(SALU_CYCLE_1)
	s_and_saveexec_b32 s2, s6
	s_cbranch_execz .LBB10_169
; %bb.168:
	s_wait_loadcnt 0x4
	v_mov_b64_e32 v[2:3], v[12:13]
	s_or_not1_b32 s3, vcc_lo, exec_lo
.LBB10_169:
	s_or_b32 exec_lo, exec_lo, s2
                                        ; implicit-def: $vgpr12_vgpr13
.LBB10_170:
	s_and_not1_saveexec_b32 s2, s5
	s_cbranch_execz .LBB10_172
; %bb.171:
	s_wait_loadcnt 0x4
	s_delay_alu instid0(VALU_DEP_1)
	v_cmp_lt_f32_e32 vcc_lo, v3, v13
	s_or_b32 s3, s3, exec_lo
	v_cndmask_b32_e32 v3, v3, v13, vcc_lo
	v_cmp_lt_f32_e32 vcc_lo, v12, v2
	v_cndmask_b32_e32 v2, v2, v12, vcc_lo
.LBB10_172:
	s_or_b32 exec_lo, exec_lo, s2
	s_wait_loadcnt 0x4
	v_and_b32_e32 v12, 1, v21
	s_mov_b32 s2, -1
	s_delay_alu instid0(VALU_DEP_1) | instskip(SKIP_1) | instid1(SALU_CYCLE_1)
	v_cmp_eq_u32_e32 vcc_lo, 1, v12
	s_and_b32 s5, s3, vcc_lo
	s_xor_b32 s5, s5, -1
	s_delay_alu instid0(SALU_CYCLE_1) | instskip(NEXT) | instid1(SALU_CYCLE_1)
	s_and_saveexec_b32 s6, s5
	s_xor_b32 s5, exec_lo, s6
	s_cbranch_execz .LBB10_176
; %bb.173:
	s_xor_b32 s6, s3, -1
	s_delay_alu instid0(SALU_CYCLE_1)
	s_and_saveexec_b32 s3, s6
; %bb.174:
	v_mov_b64_e32 v[2:3], v[10:11]
	s_or_not1_b32 s2, vcc_lo, exec_lo
; %bb.175:
	s_or_b32 exec_lo, exec_lo, s3
                                        ; implicit-def: $vgpr10_vgpr11
.LBB10_176:
	s_and_not1_saveexec_b32 s3, s5
; %bb.177:
	s_delay_alu instid0(VALU_DEP_1)
	v_cmp_lt_f32_e32 vcc_lo, v3, v11
	s_or_b32 s2, s2, exec_lo
	v_cndmask_b32_e32 v3, v3, v11, vcc_lo
	v_cmp_lt_f32_e32 vcc_lo, v10, v2
	v_cndmask_b32_e32 v2, v2, v10, vcc_lo
; %bb.178:
	s_or_b32 exec_lo, exec_lo, s3
	s_wait_loadcnt 0x3
	v_and_b32_e32 v10, 1, v20
	s_mov_b32 s3, -1
	s_delay_alu instid0(VALU_DEP_1) | instskip(SKIP_1) | instid1(SALU_CYCLE_1)
	v_cmp_eq_u32_e32 vcc_lo, 1, v10
	s_and_b32 s5, s2, vcc_lo
	s_xor_b32 s5, s5, -1
	s_delay_alu instid0(SALU_CYCLE_1) | instskip(NEXT) | instid1(SALU_CYCLE_1)
	s_and_saveexec_b32 s6, s5
	s_xor_b32 s5, exec_lo, s6
	s_cbranch_execz .LBB10_182
; %bb.179:
	s_xor_b32 s6, s2, -1
	s_delay_alu instid0(SALU_CYCLE_1)
	s_and_saveexec_b32 s2, s6
	s_cbranch_execz .LBB10_181
; %bb.180:
	s_wait_loadcnt 0x0
	v_mov_b64_e32 v[2:3], v[8:9]
	s_or_not1_b32 s3, vcc_lo, exec_lo
.LBB10_181:
	s_or_b32 exec_lo, exec_lo, s2
                                        ; implicit-def: $vgpr8_vgpr9
.LBB10_182:
	s_and_not1_saveexec_b32 s2, s5
	s_cbranch_execz .LBB10_184
; %bb.183:
	s_wait_loadcnt 0x0
	s_delay_alu instid0(VALU_DEP_1)
	v_cmp_lt_f32_e32 vcc_lo, v3, v9
	s_or_b32 s3, s3, exec_lo
	v_cndmask_b32_e32 v3, v3, v9, vcc_lo
	v_cmp_lt_f32_e32 vcc_lo, v8, v2
	v_cndmask_b32_e32 v2, v2, v8, vcc_lo
.LBB10_184:
	s_or_b32 exec_lo, exec_lo, s2
	s_wait_loadcnt 0x0
	v_and_b32_e32 v8, 1, v1
	s_delay_alu instid0(VALU_DEP_1) | instskip(SKIP_1) | instid1(SALU_CYCLE_1)
	v_cmp_eq_u32_e32 vcc_lo, 1, v8
                                        ; implicit-def: $vgpr8
	s_and_b32 s2, s3, vcc_lo
	s_xor_b32 s2, s2, -1
	s_delay_alu instid0(SALU_CYCLE_1) | instskip(NEXT) | instid1(SALU_CYCLE_1)
	s_and_saveexec_b32 s5, s2
	s_xor_b32 s2, exec_lo, s5
	s_cbranch_execz .LBB10_188
; %bb.185:
	v_mov_b32_e32 v8, 1
	s_xor_b32 s5, s3, -1
	s_delay_alu instid0(SALU_CYCLE_1)
	s_and_saveexec_b32 s3, s5
; %bb.186:
	v_mov_b64_e32 v[2:3], v[6:7]
	v_mov_b32_e32 v8, v1
; %bb.187:
	s_or_b32 exec_lo, exec_lo, s3
                                        ; implicit-def: $vgpr6_vgpr7
.LBB10_188:
	s_and_not1_saveexec_b32 s2, s2
; %bb.189:
	s_delay_alu instid0(VALU_DEP_2) | instskip(SKIP_1) | instid1(VALU_DEP_4)
	v_cmp_lt_f32_e32 vcc_lo, v3, v7
	v_dual_mov_b32 v8, 1 :: v_dual_cndmask_b32 v3, v3, v7
	v_cmp_lt_f32_e32 vcc_lo, v6, v2
	v_cndmask_b32_e32 v2, v2, v6, vcc_lo
; %bb.190:
	s_or_b32 exec_lo, exec_lo, s2
	s_delay_alu instid0(VALU_DEP_3) | instskip(SKIP_2) | instid1(VALU_DEP_3)
	v_and_b32_e32 v9, 0xff, v8
	v_and_b32_e32 v6, 1, v8
	v_mov_b32_dpp v7, v3 quad_perm:[1,0,3,2] row_mask:0xf bank_mask:0xf
	v_mov_b32_dpp v1, v9 quad_perm:[1,0,3,2] row_mask:0xf bank_mask:0xf
	s_delay_alu instid0(VALU_DEP_3) | instskip(SKIP_1) | instid1(VALU_DEP_3)
	v_cmp_eq_u32_e64 s2, 1, v6
	v_mov_b32_dpp v6, v2 quad_perm:[1,0,3,2] row_mask:0xf bank_mask:0xf
	v_and_b32_e32 v1, 1, v1
	s_delay_alu instid0(VALU_DEP_1) | instskip(SKIP_1) | instid1(SALU_CYCLE_1)
	v_cmp_eq_u32_e32 vcc_lo, 1, v1
                                        ; implicit-def: $vgpr1
	s_and_b32 s2, vcc_lo, s2
	s_xor_b32 s2, s2, -1
	s_delay_alu instid0(SALU_CYCLE_1) | instskip(NEXT) | instid1(SALU_CYCLE_1)
	s_and_saveexec_b32 s3, s2
	s_xor_b32 s2, exec_lo, s3
	s_cbranch_execz .LBB10_194
; %bb.191:
	v_mov_b32_e32 v1, 1
	s_xor_b32 s5, vcc_lo, -1
	s_delay_alu instid0(SALU_CYCLE_1)
	s_and_saveexec_b32 s3, s5
; %bb.192:
	v_mov_b64_e32 v[6:7], v[2:3]
	v_mov_b32_e32 v1, v9
; %bb.193:
	s_or_b32 exec_lo, exec_lo, s3
                                        ; implicit-def: $vgpr2_vgpr3
.LBB10_194:
	s_and_not1_saveexec_b32 s2, s2
; %bb.195:
	s_delay_alu instid0(VALU_DEP_2) | instskip(SKIP_1) | instid1(VALU_DEP_4)
	v_cmp_lt_f32_e32 vcc_lo, v7, v3
	v_dual_mov_b32 v1, 1 :: v_dual_cndmask_b32 v7, v7, v3, vcc_lo
	v_cmp_lt_f32_e32 vcc_lo, v2, v6
	v_cndmask_b32_e32 v6, v6, v2, vcc_lo
; %bb.196:
	s_or_b32 exec_lo, exec_lo, s2
	s_delay_alu instid0(VALU_DEP_3) | instskip(NEXT) | instid1(VALU_DEP_1)
	v_mov_b32_dpp v2, v1 quad_perm:[2,3,0,1] row_mask:0xf bank_mask:0xf
	v_and_b32_e32 v3, v2, v1
	v_and_b32_e32 v8, 1, v2
	v_mov_b32_dpp v2, v6 quad_perm:[2,3,0,1] row_mask:0xf bank_mask:0xf
	s_delay_alu instid0(VALU_DEP_3) | instskip(SKIP_1) | instid1(VALU_DEP_4)
	v_and_b32_e32 v9, 1, v3
	v_mov_b32_dpp v3, v7 quad_perm:[2,3,0,1] row_mask:0xf bank_mask:0xf
	v_cmp_ne_u32_e32 vcc_lo, 1, v8
                                        ; implicit-def: $vgpr8
	s_delay_alu instid0(VALU_DEP_3) | instskip(SKIP_1) | instid1(SALU_CYCLE_1)
	v_cmp_ne_u32_e64 s2, 1, v9
	s_and_saveexec_b32 s3, s2
	s_xor_b32 s2, exec_lo, s3
	s_cbranch_execz .LBB10_200
; %bb.197:
	v_mov_b32_e32 v8, 1
	s_and_saveexec_b32 s3, vcc_lo
; %bb.198:
	v_mov_b64_e32 v[2:3], v[6:7]
	v_mov_b32_e32 v8, v1
; %bb.199:
	s_or_b32 exec_lo, exec_lo, s3
                                        ; implicit-def: $vgpr6_vgpr7
.LBB10_200:
	s_and_not1_saveexec_b32 s2, s2
; %bb.201:
	s_delay_alu instid0(VALU_DEP_2) | instskip(SKIP_1) | instid1(VALU_DEP_4)
	v_cmp_lt_f32_e32 vcc_lo, v3, v7
	v_dual_mov_b32 v8, 1 :: v_dual_cndmask_b32 v3, v3, v7
	v_cmp_lt_f32_e32 vcc_lo, v6, v2
	v_cndmask_b32_e32 v2, v2, v6, vcc_lo
; %bb.202:
	s_or_b32 exec_lo, exec_lo, s2
	s_delay_alu instid0(VALU_DEP_3) | instskip(SKIP_1) | instid1(VALU_DEP_2)
	v_mov_b32_dpp v1, v8 row_ror:4 row_mask:0xf bank_mask:0xf
	v_mov_b32_dpp v7, v3 row_ror:4 row_mask:0xf bank_mask:0xf
	v_and_b32_e32 v6, v1, v8
	v_and_b32_e32 v1, 1, v1
	s_delay_alu instid0(VALU_DEP_2) | instskip(SKIP_1) | instid1(VALU_DEP_3)
	v_and_b32_e32 v9, 1, v6
	v_mov_b32_dpp v6, v2 row_ror:4 row_mask:0xf bank_mask:0xf
	v_cmp_ne_u32_e32 vcc_lo, 1, v1
                                        ; implicit-def: $vgpr1
	s_delay_alu instid0(VALU_DEP_3) | instskip(SKIP_1) | instid1(SALU_CYCLE_1)
	v_cmp_ne_u32_e64 s2, 1, v9
	s_and_saveexec_b32 s3, s2
	s_xor_b32 s2, exec_lo, s3
	s_cbranch_execz .LBB10_206
; %bb.203:
	v_mov_b32_e32 v1, 1
	s_and_saveexec_b32 s3, vcc_lo
; %bb.204:
	v_mov_b64_e32 v[6:7], v[2:3]
	v_mov_b32_e32 v1, v8
; %bb.205:
	s_or_b32 exec_lo, exec_lo, s3
                                        ; implicit-def: $vgpr2_vgpr3
.LBB10_206:
	s_and_not1_saveexec_b32 s2, s2
; %bb.207:
	s_delay_alu instid0(VALU_DEP_2) | instskip(SKIP_1) | instid1(VALU_DEP_4)
	v_cmp_lt_f32_e32 vcc_lo, v7, v3
	v_dual_mov_b32 v1, 1 :: v_dual_cndmask_b32 v7, v7, v3, vcc_lo
	v_cmp_lt_f32_e32 vcc_lo, v2, v6
	v_cndmask_b32_e32 v6, v6, v2, vcc_lo
; %bb.208:
	s_or_b32 exec_lo, exec_lo, s2
	s_delay_alu instid0(VALU_DEP_3) | instskip(NEXT) | instid1(VALU_DEP_1)
	v_mov_b32_dpp v2, v1 row_ror:8 row_mask:0xf bank_mask:0xf
	v_and_b32_e32 v3, v2, v1
	v_and_b32_e32 v8, 1, v2
	v_mov_b32_dpp v2, v6 row_ror:8 row_mask:0xf bank_mask:0xf
	s_delay_alu instid0(VALU_DEP_3) | instskip(SKIP_1) | instid1(VALU_DEP_4)
	v_and_b32_e32 v9, 1, v3
	v_mov_b32_dpp v3, v7 row_ror:8 row_mask:0xf bank_mask:0xf
	v_cmp_ne_u32_e32 vcc_lo, 1, v8
                                        ; implicit-def: $vgpr8
	s_delay_alu instid0(VALU_DEP_3) | instskip(SKIP_1) | instid1(SALU_CYCLE_1)
	v_cmp_ne_u32_e64 s2, 1, v9
	s_and_saveexec_b32 s3, s2
	s_xor_b32 s2, exec_lo, s3
	s_cbranch_execz .LBB10_212
; %bb.209:
	v_mov_b32_e32 v8, 1
	s_and_saveexec_b32 s3, vcc_lo
; %bb.210:
	v_mov_b64_e32 v[2:3], v[6:7]
	v_mov_b32_e32 v8, v1
; %bb.211:
	s_or_b32 exec_lo, exec_lo, s3
                                        ; implicit-def: $vgpr6_vgpr7
.LBB10_212:
	s_and_not1_saveexec_b32 s2, s2
; %bb.213:
	s_delay_alu instid0(VALU_DEP_2) | instskip(SKIP_1) | instid1(VALU_DEP_4)
	v_cmp_lt_f32_e32 vcc_lo, v3, v7
	v_dual_mov_b32 v8, 1 :: v_dual_cndmask_b32 v3, v3, v7
	v_cmp_lt_f32_e32 vcc_lo, v6, v2
	v_cndmask_b32_e32 v2, v2, v6, vcc_lo
; %bb.214:
	s_or_b32 exec_lo, exec_lo, s2
	ds_swizzle_b32 v1, v8 offset:swizzle(BROADCAST,32,15)
	ds_swizzle_b32 v6, v2 offset:swizzle(BROADCAST,32,15)
	;; [unrolled: 1-line block ×3, first 2 shown]
	s_wait_dscnt 0x2
	v_and_b32_e32 v9, v1, v8
	v_and_b32_e32 v1, 1, v1
	s_delay_alu instid0(VALU_DEP_2) | instskip(NEXT) | instid1(VALU_DEP_2)
	v_and_b32_e32 v9, 1, v9
	v_cmp_ne_u32_e32 vcc_lo, 1, v1
                                        ; implicit-def: $vgpr1
	s_delay_alu instid0(VALU_DEP_2) | instskip(SKIP_1) | instid1(SALU_CYCLE_1)
	v_cmp_ne_u32_e64 s2, 1, v9
	s_and_saveexec_b32 s3, s2
	s_xor_b32 s2, exec_lo, s3
	s_cbranch_execz .LBB10_218
; %bb.215:
	v_mov_b32_e32 v1, 1
	s_and_saveexec_b32 s3, vcc_lo
	s_cbranch_execz .LBB10_217
; %bb.216:
	s_wait_dscnt 0x0
	v_mov_b64_e32 v[6:7], v[2:3]
	v_mov_b32_e32 v1, v8
.LBB10_217:
	s_or_b32 exec_lo, exec_lo, s3
                                        ; implicit-def: $vgpr2_vgpr3
.LBB10_218:
	s_and_not1_saveexec_b32 s2, s2
	s_cbranch_execz .LBB10_220
; %bb.219:
	s_wait_dscnt 0x0
	s_delay_alu instid0(VALU_DEP_2)
	v_cmp_lt_f32_e32 vcc_lo, v7, v3
	v_dual_mov_b32 v1, 1 :: v_dual_cndmask_b32 v7, v7, v3, vcc_lo
	v_cmp_lt_f32_e32 vcc_lo, v2, v6
	v_cndmask_b32_e32 v6, v6, v2, vcc_lo
.LBB10_220:
	s_or_b32 exec_lo, exec_lo, s2
	v_mov_b32_e32 v3, 0
	v_mbcnt_lo_u32_b32 v8, -1, 0
	s_mov_b32 s2, exec_lo
	ds_bpermute_b32 v1, v3, v1 offset:124
	s_wait_dscnt 0x2
	ds_bpermute_b32 v2, v3, v6 offset:124
	s_wait_dscnt 0x2
	ds_bpermute_b32 v3, v3, v7 offset:124
	v_cmpx_eq_u32_e32 0, v8
	s_cbranch_execz .LBB10_222
; %bb.221:
	v_lshrrev_b32_e32 v6, 5, v0
	s_delay_alu instid0(VALU_DEP_1)
	v_mul_u32_u24_e32 v6, 12, v6
	s_wait_dscnt 0x2
	ds_store_b8 v6, v1 offset:240
	s_wait_dscnt 0x1
	ds_store_2addr_b32 v6, v2, v3 offset0:61 offset1:62
.LBB10_222:
	s_or_b32 exec_lo, exec_lo, s2
	s_delay_alu instid0(SALU_CYCLE_1)
	s_mov_b32 s2, exec_lo
	s_wait_dscnt 0x0
	s_barrier_signal -1
	s_barrier_wait -1
	v_cmpx_gt_u32_e32 32, v0
	s_cbranch_execz .LBB10_236
; %bb.223:
	v_and_b32_e32 v1, 3, v8
	s_mov_b32 s3, exec_lo
	s_delay_alu instid0(VALU_DEP_1)
	v_mul_u32_u24_e32 v2, 12, v1
	v_cmp_ne_u32_e32 vcc_lo, 3, v1
	ds_load_u8 v10, v2 offset:240
	v_add_co_ci_u32_e64 v1, null, 0, v8, vcc_lo
	ds_load_2addr_b32 v[2:3], v2 offset0:61 offset1:62
	v_lshlrev_b32_e32 v7, 2, v1
	s_wait_dscnt 0x1
	v_and_b32_e32 v6, 0xff, v10
	ds_bpermute_b32 v1, v7, v6
	s_wait_dscnt 0x0
	v_and_b32_e32 v9, v10, v1
	ds_bpermute_b32 v6, v7, v2
	ds_bpermute_b32 v7, v7, v3
	v_and_b32_e32 v9, 1, v9
	s_delay_alu instid0(VALU_DEP_1)
	v_cmpx_eq_u32_e32 1, v9
	s_xor_b32 s3, exec_lo, s3
	s_cbranch_execz .LBB10_225
; %bb.224:
	s_wait_dscnt 0x0
	v_cmp_gt_f32_e32 vcc_lo, v7, v3
                                        ; implicit-def: $vgpr1
                                        ; implicit-def: $vgpr10
	v_cndmask_b32_e32 v7, v3, v7, vcc_lo
	v_cmp_gt_f32_e32 vcc_lo, v2, v6
	v_cndmask_b32_e32 v6, v2, v6, vcc_lo
                                        ; implicit-def: $vgpr2_vgpr3
.LBB10_225:
	s_or_saveexec_b32 s3, s3
	v_dual_mov_b32 v9, 1 :: v_dual_lshlrev_b32 v8, 2, v8
	s_xor_b32 exec_lo, exec_lo, s3
	s_cbranch_execz .LBB10_229
; %bb.226:
	v_and_b32_e32 v9, 1, v10
	s_mov_b32 s5, exec_lo
	s_delay_alu instid0(VALU_DEP_1)
	v_cmpx_eq_u32_e32 1, v9
	s_cbranch_execz .LBB10_228
; %bb.227:
	s_wait_dscnt 0x0
	v_mov_b64_e32 v[6:7], v[2:3]
	v_mov_b32_e32 v1, 1
.LBB10_228:
	s_or_b32 exec_lo, exec_lo, s5
	s_delay_alu instid0(VALU_DEP_1)
	v_mov_b32_e32 v9, v1
.LBB10_229:
	s_or_b32 exec_lo, exec_lo, s3
	s_delay_alu instid0(VALU_DEP_1)
	v_and_b32_e32 v1, 0xff, v9
	v_or_b32_e32 v3, 8, v8
	s_mov_b32 s3, exec_lo
	ds_bpermute_b32 v8, v3, v1
	s_wait_dscnt 0x2
	ds_bpermute_b32 v2, v3, v6
	s_wait_dscnt 0x2
	;; [unrolled: 2-line block ×3, first 2 shown]
	v_and_b32_e32 v1, v9, v8
	s_delay_alu instid0(VALU_DEP_1) | instskip(NEXT) | instid1(VALU_DEP_1)
	v_and_b32_e32 v1, 1, v1
	v_cmpx_eq_u32_e32 1, v1
	s_xor_b32 s3, exec_lo, s3
	s_cbranch_execz .LBB10_231
; %bb.230:
	s_wait_dscnt 0x0
	v_cmp_gt_f32_e32 vcc_lo, v3, v7
                                        ; implicit-def: $vgpr8
                                        ; implicit-def: $vgpr9
	v_cndmask_b32_e32 v3, v7, v3, vcc_lo
	v_cmp_gt_f32_e32 vcc_lo, v6, v2
	v_cndmask_b32_e32 v2, v6, v2, vcc_lo
                                        ; implicit-def: $vgpr6_vgpr7
.LBB10_231:
	s_or_saveexec_b32 s3, s3
	v_mov_b32_e32 v1, 1
	s_xor_b32 exec_lo, exec_lo, s3
	s_cbranch_execz .LBB10_235
; %bb.232:
	v_and_b32_e32 v1, 1, v9
	s_mov_b32 s5, exec_lo
	s_delay_alu instid0(VALU_DEP_1)
	v_cmpx_eq_u32_e32 1, v1
	s_cbranch_execz .LBB10_234
; %bb.233:
	s_wait_dscnt 0x0
	v_mov_b64_e32 v[2:3], v[6:7]
	v_mov_b32_e32 v8, 1
.LBB10_234:
	s_or_b32 exec_lo, exec_lo, s5
	s_delay_alu instid0(VALU_DEP_1)
	v_mov_b32_e32 v1, v8
.LBB10_235:
	s_or_b32 exec_lo, exec_lo, s3
.LBB10_236:
	s_delay_alu instid0(SALU_CYCLE_1)
	s_or_b32 exec_lo, exec_lo, s2
	s_mov_b32 s2, 0
	s_branch .LBB10_287
.LBB10_237:
                                        ; implicit-def: $vgpr4_vgpr5
                                        ; implicit-def: $vgpr7
                                        ; implicit-def: $sgpr24_sgpr25
	s_branch .LBB10_675
.LBB10_238:
	s_mov_b32 s2, -1
                                        ; implicit-def: $vgpr2_vgpr3
                                        ; implicit-def: $vgpr1
.LBB10_239:
	s_delay_alu instid0(SALU_CYCLE_1)
	s_and_b32 vcc_lo, exec_lo, s2
	s_cbranch_vccz .LBB10_477
; %bb.240:
	v_mov_b64_e32 v[34:35], 0
	s_wait_dscnt 0x0
	v_mov_b64_e32 v[2:3], 0
	v_dual_mov_b32 v50, 0 :: v_dual_mov_b32 v1, 0
	s_sub_co_i32 s28, s22, s4
	s_mov_b32 s2, exec_lo
	v_cmpx_gt_u32_e64 s28, v0
	s_cbranch_execz .LBB10_242
; %bb.241:
	s_clause 0x1
	global_load_u8 v1, v[4:5], off
	global_load_b64 v[2:3], v[4:5], off offset:4
.LBB10_242:
	s_wait_xcnt 0x0
	s_or_b32 exec_lo, exec_lo, s2
	v_or_b32_e32 v6, 0x80, v0
	s_delay_alu instid0(VALU_DEP_1)
	v_cmp_gt_u32_e64 s15, s28, v6
	s_and_saveexec_b32 s2, s15
	s_cbranch_execz .LBB10_244
; %bb.243:
	s_clause 0x1
	global_load_u8 v50, v[4:5], off offset:1536
	global_load_b64 v[34:35], v[4:5], off offset:1540
.LBB10_244:
	s_wait_xcnt 0x0
	s_or_b32 exec_lo, exec_lo, s2
	v_or_b32_e32 v6, 0x100, v0
	v_mov_b64_e32 v[30:31], 0
	v_mov_b64_e32 v[32:33], 0
	v_dual_mov_b32 v48, 0 :: v_dual_mov_b32 v49, 0
	s_delay_alu instid0(VALU_DEP_4)
	v_cmp_gt_u32_e64 s14, s28, v6
	s_and_saveexec_b32 s2, s14
	s_cbranch_execz .LBB10_246
; %bb.245:
	s_clause 0x1
	global_load_u8 v49, v[4:5], off offset:3072
	global_load_b64 v[32:33], v[4:5], off offset:3076
.LBB10_246:
	s_wait_xcnt 0x0
	s_or_b32 exec_lo, exec_lo, s2
	v_or_b32_e32 v6, 0x180, v0
	s_delay_alu instid0(VALU_DEP_1)
	v_cmp_gt_u32_e64 s13, s28, v6
	s_and_saveexec_b32 s2, s13
	s_cbranch_execz .LBB10_248
; %bb.247:
	s_clause 0x1
	global_load_u8 v48, v[4:5], off offset:4608
	global_load_b64 v[30:31], v[4:5], off offset:4612
.LBB10_248:
	s_wait_xcnt 0x0
	s_or_b32 exec_lo, exec_lo, s2
	v_or_b32_e32 v6, 0x200, v0
	v_mov_b64_e32 v[26:27], 0
	v_mov_b64_e32 v[28:29], 0
	v_dual_mov_b32 v46, 0 :: v_dual_mov_b32 v47, 0
	s_delay_alu instid0(VALU_DEP_4)
	v_cmp_gt_u32_e64 s12, s28, v6
	s_and_saveexec_b32 s2, s12
	s_cbranch_execz .LBB10_250
; %bb.249:
	s_clause 0x1
	global_load_u8 v47, v[4:5], off offset:6144
	global_load_b64 v[28:29], v[4:5], off offset:6148
.LBB10_250:
	;; [unrolled: 27-line block ×6, first 2 shown]
	s_wait_xcnt 0x0
	s_or_b32 exec_lo, exec_lo, s2
	v_or_b32_e32 v6, 0x680, v0
	s_delay_alu instid0(VALU_DEP_1)
	v_cmp_gt_u32_e64 s3, s28, v6
	s_and_saveexec_b32 s2, s3
	s_cbranch_execz .LBB10_268
; %bb.267:
	s_clause 0x1
	global_load_u8 v38, v[4:5], off offset:19968
	global_load_b64 v[10:11], v[4:5], off offset:19972
.LBB10_268:
	s_wait_xcnt 0x0
	s_or_b32 exec_lo, exec_lo, s2
	v_or_b32_e32 v37, 0x700, v0
	v_mov_b64_e32 v[6:7], 0
	v_mov_b64_e32 v[8:9], 0
	v_mov_b32_e32 v36, 0
	s_delay_alu instid0(VALU_DEP_4)
	v_cmp_gt_u32_e64 s2, s28, v37
	v_mov_b32_e32 v37, 0
	s_and_saveexec_b32 s16, s2
	s_cbranch_execz .LBB10_270
; %bb.269:
	s_clause 0x1
	global_load_u8 v37, v[4:5], off offset:21504
	global_load_b64 v[8:9], v[4:5], off offset:21508
.LBB10_270:
	s_wait_xcnt 0x0
	s_or_b32 exec_lo, exec_lo, s16
	v_or_b32_e32 v51, 0x780, v0
	s_delay_alu instid0(VALU_DEP_1)
	v_cmp_gt_u32_e32 vcc_lo, s28, v51
	s_and_saveexec_b32 s16, vcc_lo
	s_cbranch_execnz .LBB10_310
; %bb.271:
	s_or_b32 exec_lo, exec_lo, s16
	s_and_saveexec_b32 s29, s15
	s_cbranch_execnz .LBB10_311
.LBB10_272:
	s_or_b32 exec_lo, exec_lo, s29
	s_and_saveexec_b32 s16, s14
	s_cbranch_execnz .LBB10_318
.LBB10_273:
	s_or_b32 exec_lo, exec_lo, s16
	s_and_saveexec_b32 s15, s13
	s_cbranch_execnz .LBB10_325
.LBB10_274:
	s_or_b32 exec_lo, exec_lo, s15
	s_and_saveexec_b32 s14, s12
	s_cbranch_execnz .LBB10_332
.LBB10_275:
	s_or_b32 exec_lo, exec_lo, s14
	s_and_saveexec_b32 s13, s11
	s_cbranch_execnz .LBB10_339
.LBB10_276:
	s_or_b32 exec_lo, exec_lo, s13
	s_and_saveexec_b32 s12, s10
	s_cbranch_execnz .LBB10_346
.LBB10_277:
	s_or_b32 exec_lo, exec_lo, s12
	s_and_saveexec_b32 s11, s9
	s_cbranch_execnz .LBB10_353
.LBB10_278:
	s_or_b32 exec_lo, exec_lo, s11
	s_and_saveexec_b32 s10, s8
	s_cbranch_execnz .LBB10_360
.LBB10_279:
	s_or_b32 exec_lo, exec_lo, s10
	s_and_saveexec_b32 s9, s7
	s_cbranch_execnz .LBB10_367
.LBB10_280:
	s_or_b32 exec_lo, exec_lo, s9
	s_and_saveexec_b32 s8, s6
	s_cbranch_execnz .LBB10_374
.LBB10_281:
	s_or_b32 exec_lo, exec_lo, s8
	s_and_saveexec_b32 s7, s5
	s_cbranch_execnz .LBB10_381
.LBB10_282:
	s_or_b32 exec_lo, exec_lo, s7
	s_and_saveexec_b32 s6, s4
	s_cbranch_execnz .LBB10_388
.LBB10_283:
	s_or_b32 exec_lo, exec_lo, s6
	s_and_saveexec_b32 s5, s3
	s_cbranch_execnz .LBB10_395
.LBB10_284:
	s_or_b32 exec_lo, exec_lo, s5
	s_and_saveexec_b32 s4, s2
	s_cbranch_execnz .LBB10_402
.LBB10_285:
	s_or_b32 exec_lo, exec_lo, s4
	s_and_saveexec_b32 s3, vcc_lo
	s_cbranch_execnz .LBB10_409
	s_branch .LBB10_416
.LBB10_286:
	s_mov_b32 s2, -1
                                        ; implicit-def: $vgpr2_vgpr3
                                        ; implicit-def: $vgpr1
.LBB10_287:
	s_delay_alu instid0(SALU_CYCLE_1)
	s_and_b32 vcc_lo, exec_lo, s2
	s_cbranch_vccz .LBB10_598
; %bb.288:
	v_mov_b64_e32 v[18:19], 0
	s_wait_dscnt 0x0
	v_mov_b64_e32 v[2:3], 0
	v_dual_mov_b32 v26, 0 :: v_dual_mov_b32 v1, 0
	s_sub_co_i32 s10, s22, s4
	s_mov_b32 s2, exec_lo
	v_cmpx_gt_u32_e64 s10, v0
	s_cbranch_execz .LBB10_290
; %bb.289:
	s_clause 0x1
	global_load_u8 v1, v[4:5], off
	global_load_b64 v[2:3], v[4:5], off offset:4
.LBB10_290:
	s_wait_xcnt 0x0
	s_or_b32 exec_lo, exec_lo, s2
	v_or_b32_e32 v6, 0x80, v0
	s_delay_alu instid0(VALU_DEP_1)
	v_cmp_gt_u32_e64 s7, s10, v6
	s_and_saveexec_b32 s2, s7
	s_cbranch_execz .LBB10_292
; %bb.291:
	s_clause 0x1
	global_load_u8 v26, v[4:5], off offset:1536
	global_load_b64 v[18:19], v[4:5], off offset:1540
.LBB10_292:
	s_wait_xcnt 0x0
	s_or_b32 exec_lo, exec_lo, s2
	v_or_b32_e32 v6, 0x100, v0
	v_mov_b64_e32 v[14:15], 0
	v_mov_b64_e32 v[16:17], 0
	v_dual_mov_b32 v24, 0 :: v_dual_mov_b32 v25, 0
	s_delay_alu instid0(VALU_DEP_4)
	v_cmp_gt_u32_e64 s6, s10, v6
	s_and_saveexec_b32 s2, s6
	s_cbranch_execz .LBB10_294
; %bb.293:
	s_clause 0x1
	global_load_u8 v25, v[4:5], off offset:3072
	global_load_b64 v[16:17], v[4:5], off offset:3076
.LBB10_294:
	s_wait_xcnt 0x0
	s_or_b32 exec_lo, exec_lo, s2
	v_or_b32_e32 v6, 0x180, v0
	s_delay_alu instid0(VALU_DEP_1)
	v_cmp_gt_u32_e64 s5, s10, v6
	s_and_saveexec_b32 s2, s5
	s_cbranch_execz .LBB10_296
; %bb.295:
	s_clause 0x1
	global_load_u8 v24, v[4:5], off offset:4608
	global_load_b64 v[14:15], v[4:5], off offset:4612
.LBB10_296:
	s_wait_xcnt 0x0
	s_or_b32 exec_lo, exec_lo, s2
	v_or_b32_e32 v6, 0x200, v0
	v_mov_b64_e32 v[10:11], 0
	v_mov_b64_e32 v[12:13], 0
	v_dual_mov_b32 v22, 0 :: v_dual_mov_b32 v23, 0
	s_delay_alu instid0(VALU_DEP_4)
	v_cmp_gt_u32_e64 s4, s10, v6
	s_and_saveexec_b32 s2, s4
	s_cbranch_execz .LBB10_298
; %bb.297:
	s_clause 0x1
	global_load_u8 v23, v[4:5], off offset:6144
	global_load_b64 v[12:13], v[4:5], off offset:6148
.LBB10_298:
	s_wait_xcnt 0x0
	s_or_b32 exec_lo, exec_lo, s2
	v_or_b32_e32 v6, 0x280, v0
	s_delay_alu instid0(VALU_DEP_1)
	v_cmp_gt_u32_e64 s3, s10, v6
	s_and_saveexec_b32 s2, s3
	s_cbranch_execz .LBB10_300
; %bb.299:
	s_clause 0x1
	global_load_u8 v22, v[4:5], off offset:7680
	global_load_b64 v[10:11], v[4:5], off offset:7684
.LBB10_300:
	s_wait_xcnt 0x0
	s_or_b32 exec_lo, exec_lo, s2
	v_or_b32_e32 v21, 0x300, v0
	v_mov_b64_e32 v[6:7], 0
	v_mov_b64_e32 v[8:9], 0
	v_mov_b32_e32 v20, 0
	s_delay_alu instid0(VALU_DEP_4)
	v_cmp_gt_u32_e64 s2, s10, v21
	v_mov_b32_e32 v21, 0
	s_and_saveexec_b32 s8, s2
	s_cbranch_execz .LBB10_302
; %bb.301:
	s_clause 0x1
	global_load_u8 v21, v[4:5], off offset:9216
	global_load_b64 v[8:9], v[4:5], off offset:9220
.LBB10_302:
	s_wait_xcnt 0x0
	s_or_b32 exec_lo, exec_lo, s8
	v_or_b32_e32 v27, 0x380, v0
	s_delay_alu instid0(VALU_DEP_1)
	v_cmp_gt_u32_e32 vcc_lo, s10, v27
	s_and_saveexec_b32 s8, vcc_lo
	s_cbranch_execnz .LBB10_487
; %bb.303:
	s_or_b32 exec_lo, exec_lo, s8
	s_and_saveexec_b32 s11, s7
	s_cbranch_execnz .LBB10_488
.LBB10_304:
	s_or_b32 exec_lo, exec_lo, s11
	s_and_saveexec_b32 s8, s6
	s_cbranch_execnz .LBB10_495
.LBB10_305:
	s_or_b32 exec_lo, exec_lo, s8
	s_and_saveexec_b32 s7, s5
	s_cbranch_execnz .LBB10_502
.LBB10_306:
	s_or_b32 exec_lo, exec_lo, s7
	s_and_saveexec_b32 s6, s4
	s_cbranch_execnz .LBB10_509
.LBB10_307:
	s_or_b32 exec_lo, exec_lo, s6
	s_and_saveexec_b32 s5, s3
	s_cbranch_execnz .LBB10_516
.LBB10_308:
	s_or_b32 exec_lo, exec_lo, s5
	s_and_saveexec_b32 s4, s2
	s_cbranch_execnz .LBB10_523
.LBB10_309:
	s_or_b32 exec_lo, exec_lo, s4
	s_and_saveexec_b32 s3, vcc_lo
	s_cbranch_execnz .LBB10_530
	s_branch .LBB10_537
.LBB10_310:
	s_clause 0x1
	global_load_u8 v36, v[4:5], off offset:23040
	global_load_b64 v[6:7], v[4:5], off offset:23044
	s_wait_xcnt 0x0
	s_or_b32 exec_lo, exec_lo, s16
	s_and_saveexec_b32 s29, s15
	s_cbranch_execz .LBB10_272
.LBB10_311:
	s_wait_loadcnt 0x1
	v_and_b32_e32 v1, 1, v1
	v_and_b32_e32 v4, 1, v50
	s_delay_alu instid0(VALU_DEP_2) | instskip(NEXT) | instid1(VALU_DEP_2)
	v_cmp_eq_u32_e64 s15, 1, v1
	v_cmp_eq_u32_e64 s16, 1, v4
                                        ; implicit-def: $vgpr1
	s_and_b32 s16, s15, s16
	s_delay_alu instid0(SALU_CYCLE_1) | instskip(NEXT) | instid1(SALU_CYCLE_1)
	s_xor_b32 s16, s16, -1
	s_and_saveexec_b32 s30, s16
	s_delay_alu instid0(SALU_CYCLE_1)
	s_xor_b32 s16, exec_lo, s30
	s_cbranch_execz .LBB10_315
; %bb.312:
	v_mov_b32_e32 v1, 1
	s_xor_b32 s30, s15, -1
	s_delay_alu instid0(SALU_CYCLE_1)
	s_and_saveexec_b32 s15, s30
	s_cbranch_execz .LBB10_314
; %bb.313:
	s_wait_loadcnt 0x0
	v_mov_b64_e32 v[2:3], v[34:35]
	v_and_b32_e32 v1, 0xff, v50
.LBB10_314:
	s_or_b32 exec_lo, exec_lo, s15
                                        ; implicit-def: $vgpr34_vgpr35
.LBB10_315:
	s_and_not1_saveexec_b32 s16, s16
	s_cbranch_execz .LBB10_317
; %bb.316:
	s_wait_loadcnt 0x0
	s_delay_alu instid0(VALU_DEP_2) | instskip(NEXT) | instid1(VALU_DEP_1)
	v_cmp_lt_f32_e64 s15, v3, v35
	v_dual_mov_b32 v1, 1 :: v_dual_cndmask_b32 v3, v3, v35, s15
	v_cmp_lt_f32_e64 s15, v34, v2
	s_delay_alu instid0(VALU_DEP_1)
	v_cndmask_b32_e64 v2, v2, v34, s15
.LBB10_317:
	s_or_b32 exec_lo, exec_lo, s16
	s_delay_alu instid0(SALU_CYCLE_1)
	s_or_b32 exec_lo, exec_lo, s29
	s_and_saveexec_b32 s16, s14
	s_cbranch_execz .LBB10_273
.LBB10_318:
	s_wait_loadcnt 0x1
	v_and_b32_e32 v1, 1, v1
	v_and_b32_e32 v4, 1, v49
	s_delay_alu instid0(VALU_DEP_2) | instskip(NEXT) | instid1(VALU_DEP_2)
	v_cmp_eq_u32_e64 s14, 1, v1
	v_cmp_eq_u32_e64 s15, 1, v4
                                        ; implicit-def: $vgpr1
	s_and_b32 s15, s14, s15
	s_delay_alu instid0(SALU_CYCLE_1) | instskip(NEXT) | instid1(SALU_CYCLE_1)
	s_xor_b32 s15, s15, -1
	s_and_saveexec_b32 s29, s15
	s_delay_alu instid0(SALU_CYCLE_1)
	s_xor_b32 s15, exec_lo, s29
	s_cbranch_execz .LBB10_322
; %bb.319:
	v_mov_b32_e32 v1, 1
	s_xor_b32 s29, s14, -1
	s_delay_alu instid0(SALU_CYCLE_1)
	s_and_saveexec_b32 s14, s29
	s_cbranch_execz .LBB10_321
; %bb.320:
	s_wait_loadcnt 0x0
	v_mov_b64_e32 v[2:3], v[32:33]
	v_and_b32_e32 v1, 0xff, v49
.LBB10_321:
	s_or_b32 exec_lo, exec_lo, s14
                                        ; implicit-def: $vgpr32_vgpr33
.LBB10_322:
	s_and_not1_saveexec_b32 s15, s15
	s_cbranch_execz .LBB10_324
; %bb.323:
	s_wait_loadcnt 0x0
	s_delay_alu instid0(VALU_DEP_2) | instskip(NEXT) | instid1(VALU_DEP_1)
	v_cmp_lt_f32_e64 s14, v3, v33
	v_dual_mov_b32 v1, 1 :: v_dual_cndmask_b32 v3, v3, v33, s14
	v_cmp_lt_f32_e64 s14, v32, v2
	s_delay_alu instid0(VALU_DEP_1)
	v_cndmask_b32_e64 v2, v2, v32, s14
.LBB10_324:
	s_or_b32 exec_lo, exec_lo, s15
	s_delay_alu instid0(SALU_CYCLE_1)
	s_or_b32 exec_lo, exec_lo, s16
	s_and_saveexec_b32 s15, s13
	s_cbranch_execz .LBB10_274
.LBB10_325:
	s_wait_loadcnt 0x1
	v_and_b32_e32 v1, 1, v1
	v_and_b32_e32 v4, 1, v48
	s_delay_alu instid0(VALU_DEP_2) | instskip(NEXT) | instid1(VALU_DEP_2)
	v_cmp_eq_u32_e64 s13, 1, v1
	v_cmp_eq_u32_e64 s14, 1, v4
                                        ; implicit-def: $vgpr1
	s_and_b32 s14, s13, s14
	s_delay_alu instid0(SALU_CYCLE_1) | instskip(NEXT) | instid1(SALU_CYCLE_1)
	s_xor_b32 s14, s14, -1
	s_and_saveexec_b32 s16, s14
	s_delay_alu instid0(SALU_CYCLE_1)
	s_xor_b32 s14, exec_lo, s16
	s_cbranch_execz .LBB10_329
; %bb.326:
	v_mov_b32_e32 v1, 1
	s_xor_b32 s16, s13, -1
	s_delay_alu instid0(SALU_CYCLE_1)
	s_and_saveexec_b32 s13, s16
	s_cbranch_execz .LBB10_328
; %bb.327:
	s_wait_loadcnt 0x0
	v_mov_b64_e32 v[2:3], v[30:31]
	v_and_b32_e32 v1, 0xff, v48
.LBB10_328:
	s_or_b32 exec_lo, exec_lo, s13
                                        ; implicit-def: $vgpr30_vgpr31
.LBB10_329:
	s_and_not1_saveexec_b32 s14, s14
	s_cbranch_execz .LBB10_331
; %bb.330:
	s_wait_loadcnt 0x0
	s_delay_alu instid0(VALU_DEP_2) | instskip(NEXT) | instid1(VALU_DEP_1)
	v_cmp_lt_f32_e64 s13, v3, v31
	v_dual_mov_b32 v1, 1 :: v_dual_cndmask_b32 v3, v3, v31, s13
	v_cmp_lt_f32_e64 s13, v30, v2
	s_delay_alu instid0(VALU_DEP_1)
	v_cndmask_b32_e64 v2, v2, v30, s13
.LBB10_331:
	s_or_b32 exec_lo, exec_lo, s14
	s_delay_alu instid0(SALU_CYCLE_1)
	s_or_b32 exec_lo, exec_lo, s15
	s_and_saveexec_b32 s14, s12
	s_cbranch_execz .LBB10_275
.LBB10_332:
	s_wait_loadcnt 0x1
	v_and_b32_e32 v1, 1, v1
	v_and_b32_e32 v4, 1, v47
	s_delay_alu instid0(VALU_DEP_2) | instskip(NEXT) | instid1(VALU_DEP_2)
	v_cmp_eq_u32_e64 s12, 1, v1
	v_cmp_eq_u32_e64 s13, 1, v4
                                        ; implicit-def: $vgpr1
	s_and_b32 s13, s12, s13
	s_delay_alu instid0(SALU_CYCLE_1) | instskip(NEXT) | instid1(SALU_CYCLE_1)
	s_xor_b32 s13, s13, -1
	s_and_saveexec_b32 s15, s13
	s_delay_alu instid0(SALU_CYCLE_1)
	s_xor_b32 s13, exec_lo, s15
	s_cbranch_execz .LBB10_336
; %bb.333:
	v_mov_b32_e32 v1, 1
	s_xor_b32 s15, s12, -1
	s_delay_alu instid0(SALU_CYCLE_1)
	s_and_saveexec_b32 s12, s15
	s_cbranch_execz .LBB10_335
; %bb.334:
	s_wait_loadcnt 0x0
	v_mov_b64_e32 v[2:3], v[28:29]
	v_and_b32_e32 v1, 0xff, v47
.LBB10_335:
	s_or_b32 exec_lo, exec_lo, s12
                                        ; implicit-def: $vgpr28_vgpr29
.LBB10_336:
	s_and_not1_saveexec_b32 s13, s13
	s_cbranch_execz .LBB10_338
; %bb.337:
	s_wait_loadcnt 0x0
	s_delay_alu instid0(VALU_DEP_2) | instskip(NEXT) | instid1(VALU_DEP_1)
	v_cmp_lt_f32_e64 s12, v3, v29
	v_dual_mov_b32 v1, 1 :: v_dual_cndmask_b32 v3, v3, v29, s12
	v_cmp_lt_f32_e64 s12, v28, v2
	s_delay_alu instid0(VALU_DEP_1)
	v_cndmask_b32_e64 v2, v2, v28, s12
.LBB10_338:
	s_or_b32 exec_lo, exec_lo, s13
	s_delay_alu instid0(SALU_CYCLE_1)
	s_or_b32 exec_lo, exec_lo, s14
	s_and_saveexec_b32 s13, s11
	s_cbranch_execz .LBB10_276
.LBB10_339:
	s_wait_loadcnt 0x1
	v_and_b32_e32 v1, 1, v1
	v_and_b32_e32 v4, 1, v46
	s_delay_alu instid0(VALU_DEP_2) | instskip(NEXT) | instid1(VALU_DEP_2)
	v_cmp_eq_u32_e64 s11, 1, v1
	v_cmp_eq_u32_e64 s12, 1, v4
                                        ; implicit-def: $vgpr1
	s_and_b32 s12, s11, s12
	s_delay_alu instid0(SALU_CYCLE_1) | instskip(NEXT) | instid1(SALU_CYCLE_1)
	s_xor_b32 s12, s12, -1
	s_and_saveexec_b32 s14, s12
	s_delay_alu instid0(SALU_CYCLE_1)
	s_xor_b32 s12, exec_lo, s14
	s_cbranch_execz .LBB10_343
; %bb.340:
	v_mov_b32_e32 v1, 1
	s_xor_b32 s14, s11, -1
	s_delay_alu instid0(SALU_CYCLE_1)
	s_and_saveexec_b32 s11, s14
	s_cbranch_execz .LBB10_342
; %bb.341:
	s_wait_loadcnt 0x0
	v_mov_b64_e32 v[2:3], v[26:27]
	v_and_b32_e32 v1, 0xff, v46
.LBB10_342:
	s_or_b32 exec_lo, exec_lo, s11
                                        ; implicit-def: $vgpr26_vgpr27
.LBB10_343:
	s_and_not1_saveexec_b32 s12, s12
	s_cbranch_execz .LBB10_345
; %bb.344:
	s_wait_loadcnt 0x0
	s_delay_alu instid0(VALU_DEP_2) | instskip(NEXT) | instid1(VALU_DEP_1)
	v_cmp_lt_f32_e64 s11, v3, v27
	v_dual_mov_b32 v1, 1 :: v_dual_cndmask_b32 v3, v3, v27, s11
	v_cmp_lt_f32_e64 s11, v26, v2
	s_delay_alu instid0(VALU_DEP_1)
	v_cndmask_b32_e64 v2, v2, v26, s11
.LBB10_345:
	s_or_b32 exec_lo, exec_lo, s12
	s_delay_alu instid0(SALU_CYCLE_1)
	s_or_b32 exec_lo, exec_lo, s13
	s_and_saveexec_b32 s12, s10
	s_cbranch_execz .LBB10_277
.LBB10_346:
	s_wait_loadcnt 0x1
	v_and_b32_e32 v1, 1, v1
	v_and_b32_e32 v4, 1, v45
	s_delay_alu instid0(VALU_DEP_2) | instskip(NEXT) | instid1(VALU_DEP_2)
	v_cmp_eq_u32_e64 s10, 1, v1
	v_cmp_eq_u32_e64 s11, 1, v4
                                        ; implicit-def: $vgpr1
	s_and_b32 s11, s10, s11
	s_delay_alu instid0(SALU_CYCLE_1) | instskip(NEXT) | instid1(SALU_CYCLE_1)
	s_xor_b32 s11, s11, -1
	s_and_saveexec_b32 s13, s11
	s_delay_alu instid0(SALU_CYCLE_1)
	s_xor_b32 s11, exec_lo, s13
	s_cbranch_execz .LBB10_350
; %bb.347:
	v_mov_b32_e32 v1, 1
	s_xor_b32 s13, s10, -1
	s_delay_alu instid0(SALU_CYCLE_1)
	s_and_saveexec_b32 s10, s13
	s_cbranch_execz .LBB10_349
; %bb.348:
	s_wait_loadcnt 0x0
	v_mov_b64_e32 v[2:3], v[24:25]
	v_and_b32_e32 v1, 0xff, v45
.LBB10_349:
	s_or_b32 exec_lo, exec_lo, s10
                                        ; implicit-def: $vgpr24_vgpr25
.LBB10_350:
	s_and_not1_saveexec_b32 s11, s11
	s_cbranch_execz .LBB10_352
; %bb.351:
	s_wait_loadcnt 0x0
	s_delay_alu instid0(VALU_DEP_2) | instskip(NEXT) | instid1(VALU_DEP_1)
	v_cmp_lt_f32_e64 s10, v3, v25
	v_dual_mov_b32 v1, 1 :: v_dual_cndmask_b32 v3, v3, v25, s10
	v_cmp_lt_f32_e64 s10, v24, v2
	s_delay_alu instid0(VALU_DEP_1)
	v_cndmask_b32_e64 v2, v2, v24, s10
.LBB10_352:
	s_or_b32 exec_lo, exec_lo, s11
	s_delay_alu instid0(SALU_CYCLE_1)
	s_or_b32 exec_lo, exec_lo, s12
	s_and_saveexec_b32 s11, s9
	s_cbranch_execz .LBB10_278
.LBB10_353:
	s_wait_loadcnt 0x1
	v_and_b32_e32 v1, 1, v1
	v_and_b32_e32 v4, 1, v44
	s_delay_alu instid0(VALU_DEP_2) | instskip(NEXT) | instid1(VALU_DEP_2)
	v_cmp_eq_u32_e64 s9, 1, v1
	v_cmp_eq_u32_e64 s10, 1, v4
                                        ; implicit-def: $vgpr1
	s_and_b32 s10, s9, s10
	s_delay_alu instid0(SALU_CYCLE_1) | instskip(NEXT) | instid1(SALU_CYCLE_1)
	s_xor_b32 s10, s10, -1
	s_and_saveexec_b32 s12, s10
	s_delay_alu instid0(SALU_CYCLE_1)
	s_xor_b32 s10, exec_lo, s12
	s_cbranch_execz .LBB10_357
; %bb.354:
	v_mov_b32_e32 v1, 1
	s_xor_b32 s12, s9, -1
	s_delay_alu instid0(SALU_CYCLE_1)
	s_and_saveexec_b32 s9, s12
	s_cbranch_execz .LBB10_356
; %bb.355:
	s_wait_loadcnt 0x0
	v_mov_b64_e32 v[2:3], v[22:23]
	v_and_b32_e32 v1, 0xff, v44
.LBB10_356:
	s_or_b32 exec_lo, exec_lo, s9
                                        ; implicit-def: $vgpr22_vgpr23
.LBB10_357:
	s_and_not1_saveexec_b32 s10, s10
	s_cbranch_execz .LBB10_359
; %bb.358:
	s_wait_loadcnt 0x0
	s_delay_alu instid0(VALU_DEP_2) | instskip(NEXT) | instid1(VALU_DEP_1)
	v_cmp_lt_f32_e64 s9, v3, v23
	v_dual_mov_b32 v1, 1 :: v_dual_cndmask_b32 v3, v3, v23, s9
	v_cmp_lt_f32_e64 s9, v22, v2
	s_delay_alu instid0(VALU_DEP_1)
	v_cndmask_b32_e64 v2, v2, v22, s9
.LBB10_359:
	s_or_b32 exec_lo, exec_lo, s10
	s_delay_alu instid0(SALU_CYCLE_1)
	s_or_b32 exec_lo, exec_lo, s11
	s_and_saveexec_b32 s10, s8
	s_cbranch_execz .LBB10_279
.LBB10_360:
	s_wait_loadcnt 0x1
	v_and_b32_e32 v1, 1, v1
	v_and_b32_e32 v4, 1, v43
	s_delay_alu instid0(VALU_DEP_2) | instskip(NEXT) | instid1(VALU_DEP_2)
	v_cmp_eq_u32_e64 s8, 1, v1
	v_cmp_eq_u32_e64 s9, 1, v4
                                        ; implicit-def: $vgpr1
	s_and_b32 s9, s8, s9
	s_delay_alu instid0(SALU_CYCLE_1) | instskip(NEXT) | instid1(SALU_CYCLE_1)
	s_xor_b32 s9, s9, -1
	s_and_saveexec_b32 s11, s9
	s_delay_alu instid0(SALU_CYCLE_1)
	s_xor_b32 s9, exec_lo, s11
	s_cbranch_execz .LBB10_364
; %bb.361:
	v_mov_b32_e32 v1, 1
	s_xor_b32 s11, s8, -1
	s_delay_alu instid0(SALU_CYCLE_1)
	s_and_saveexec_b32 s8, s11
	s_cbranch_execz .LBB10_363
; %bb.362:
	s_wait_loadcnt 0x0
	v_mov_b64_e32 v[2:3], v[20:21]
	v_and_b32_e32 v1, 0xff, v43
.LBB10_363:
	s_or_b32 exec_lo, exec_lo, s8
                                        ; implicit-def: $vgpr20_vgpr21
.LBB10_364:
	s_and_not1_saveexec_b32 s9, s9
	s_cbranch_execz .LBB10_366
; %bb.365:
	s_wait_loadcnt 0x0
	s_delay_alu instid0(VALU_DEP_2) | instskip(NEXT) | instid1(VALU_DEP_1)
	v_cmp_lt_f32_e64 s8, v3, v21
	v_dual_mov_b32 v1, 1 :: v_dual_cndmask_b32 v3, v3, v21, s8
	v_cmp_lt_f32_e64 s8, v20, v2
	s_delay_alu instid0(VALU_DEP_1)
	v_cndmask_b32_e64 v2, v2, v20, s8
.LBB10_366:
	s_or_b32 exec_lo, exec_lo, s9
	s_delay_alu instid0(SALU_CYCLE_1)
	s_or_b32 exec_lo, exec_lo, s10
	s_and_saveexec_b32 s9, s7
	s_cbranch_execz .LBB10_280
.LBB10_367:
	s_wait_loadcnt 0x1
	v_and_b32_e32 v1, 1, v1
	v_and_b32_e32 v4, 1, v42
	s_delay_alu instid0(VALU_DEP_2) | instskip(NEXT) | instid1(VALU_DEP_2)
	v_cmp_eq_u32_e64 s7, 1, v1
	v_cmp_eq_u32_e64 s8, 1, v4
                                        ; implicit-def: $vgpr1
	s_and_b32 s8, s7, s8
	s_delay_alu instid0(SALU_CYCLE_1) | instskip(NEXT) | instid1(SALU_CYCLE_1)
	s_xor_b32 s8, s8, -1
	s_and_saveexec_b32 s10, s8
	s_delay_alu instid0(SALU_CYCLE_1)
	s_xor_b32 s8, exec_lo, s10
	s_cbranch_execz .LBB10_371
; %bb.368:
	v_mov_b32_e32 v1, 1
	s_xor_b32 s10, s7, -1
	s_delay_alu instid0(SALU_CYCLE_1)
	s_and_saveexec_b32 s7, s10
	s_cbranch_execz .LBB10_370
; %bb.369:
	s_wait_loadcnt 0x0
	v_mov_b64_e32 v[2:3], v[18:19]
	v_and_b32_e32 v1, 0xff, v42
.LBB10_370:
	s_or_b32 exec_lo, exec_lo, s7
                                        ; implicit-def: $vgpr18_vgpr19
.LBB10_371:
	s_and_not1_saveexec_b32 s8, s8
	s_cbranch_execz .LBB10_373
; %bb.372:
	s_wait_loadcnt 0x0
	s_delay_alu instid0(VALU_DEP_2) | instskip(NEXT) | instid1(VALU_DEP_1)
	v_cmp_lt_f32_e64 s7, v3, v19
	v_dual_mov_b32 v1, 1 :: v_dual_cndmask_b32 v3, v3, v19, s7
	v_cmp_lt_f32_e64 s7, v18, v2
	s_delay_alu instid0(VALU_DEP_1)
	v_cndmask_b32_e64 v2, v2, v18, s7
.LBB10_373:
	s_or_b32 exec_lo, exec_lo, s8
	s_delay_alu instid0(SALU_CYCLE_1)
	s_or_b32 exec_lo, exec_lo, s9
	s_and_saveexec_b32 s8, s6
	s_cbranch_execz .LBB10_281
.LBB10_374:
	s_wait_loadcnt 0x1
	v_and_b32_e32 v1, 1, v1
	v_and_b32_e32 v4, 1, v41
	s_delay_alu instid0(VALU_DEP_2) | instskip(NEXT) | instid1(VALU_DEP_2)
	v_cmp_eq_u32_e64 s6, 1, v1
	v_cmp_eq_u32_e64 s7, 1, v4
                                        ; implicit-def: $vgpr1
	s_and_b32 s7, s6, s7
	s_delay_alu instid0(SALU_CYCLE_1) | instskip(NEXT) | instid1(SALU_CYCLE_1)
	s_xor_b32 s7, s7, -1
	s_and_saveexec_b32 s9, s7
	s_delay_alu instid0(SALU_CYCLE_1)
	s_xor_b32 s7, exec_lo, s9
	s_cbranch_execz .LBB10_378
; %bb.375:
	v_mov_b32_e32 v1, 1
	s_xor_b32 s9, s6, -1
	s_delay_alu instid0(SALU_CYCLE_1)
	s_and_saveexec_b32 s6, s9
	s_cbranch_execz .LBB10_377
; %bb.376:
	s_wait_loadcnt 0x0
	v_mov_b64_e32 v[2:3], v[16:17]
	v_and_b32_e32 v1, 0xff, v41
.LBB10_377:
	s_or_b32 exec_lo, exec_lo, s6
                                        ; implicit-def: $vgpr16_vgpr17
.LBB10_378:
	s_and_not1_saveexec_b32 s7, s7
	s_cbranch_execz .LBB10_380
; %bb.379:
	s_wait_loadcnt 0x0
	s_delay_alu instid0(VALU_DEP_2) | instskip(NEXT) | instid1(VALU_DEP_1)
	v_cmp_lt_f32_e64 s6, v3, v17
	v_dual_mov_b32 v1, 1 :: v_dual_cndmask_b32 v3, v3, v17, s6
	v_cmp_lt_f32_e64 s6, v16, v2
	s_delay_alu instid0(VALU_DEP_1)
	v_cndmask_b32_e64 v2, v2, v16, s6
.LBB10_380:
	s_or_b32 exec_lo, exec_lo, s7
	s_delay_alu instid0(SALU_CYCLE_1)
	s_or_b32 exec_lo, exec_lo, s8
	s_and_saveexec_b32 s7, s5
	s_cbranch_execz .LBB10_282
.LBB10_381:
	s_wait_loadcnt 0x1
	v_and_b32_e32 v1, 1, v1
	v_and_b32_e32 v4, 1, v40
	s_delay_alu instid0(VALU_DEP_2) | instskip(NEXT) | instid1(VALU_DEP_2)
	v_cmp_eq_u32_e64 s5, 1, v1
	v_cmp_eq_u32_e64 s6, 1, v4
                                        ; implicit-def: $vgpr1
	s_and_b32 s6, s5, s6
	s_delay_alu instid0(SALU_CYCLE_1) | instskip(NEXT) | instid1(SALU_CYCLE_1)
	s_xor_b32 s6, s6, -1
	s_and_saveexec_b32 s8, s6
	s_delay_alu instid0(SALU_CYCLE_1)
	s_xor_b32 s6, exec_lo, s8
	s_cbranch_execz .LBB10_385
; %bb.382:
	v_mov_b32_e32 v1, 1
	s_xor_b32 s8, s5, -1
	s_delay_alu instid0(SALU_CYCLE_1)
	s_and_saveexec_b32 s5, s8
	s_cbranch_execz .LBB10_384
; %bb.383:
	s_wait_loadcnt 0x0
	v_mov_b64_e32 v[2:3], v[14:15]
	v_and_b32_e32 v1, 0xff, v40
.LBB10_384:
	s_or_b32 exec_lo, exec_lo, s5
                                        ; implicit-def: $vgpr14_vgpr15
.LBB10_385:
	s_and_not1_saveexec_b32 s6, s6
	s_cbranch_execz .LBB10_387
; %bb.386:
	s_wait_loadcnt 0x0
	s_delay_alu instid0(VALU_DEP_2) | instskip(NEXT) | instid1(VALU_DEP_1)
	v_cmp_lt_f32_e64 s5, v3, v15
	v_dual_mov_b32 v1, 1 :: v_dual_cndmask_b32 v3, v3, v15, s5
	v_cmp_lt_f32_e64 s5, v14, v2
	s_delay_alu instid0(VALU_DEP_1)
	v_cndmask_b32_e64 v2, v2, v14, s5
.LBB10_387:
	s_or_b32 exec_lo, exec_lo, s6
	s_delay_alu instid0(SALU_CYCLE_1)
	s_or_b32 exec_lo, exec_lo, s7
	s_and_saveexec_b32 s6, s4
	s_cbranch_execz .LBB10_283
.LBB10_388:
	s_wait_loadcnt 0x1
	v_and_b32_e32 v1, 1, v1
	v_and_b32_e32 v4, 1, v39
	s_delay_alu instid0(VALU_DEP_2) | instskip(NEXT) | instid1(VALU_DEP_2)
	v_cmp_eq_u32_e64 s4, 1, v1
	v_cmp_eq_u32_e64 s5, 1, v4
                                        ; implicit-def: $vgpr1
	s_and_b32 s5, s4, s5
	s_delay_alu instid0(SALU_CYCLE_1) | instskip(NEXT) | instid1(SALU_CYCLE_1)
	s_xor_b32 s5, s5, -1
	s_and_saveexec_b32 s7, s5
	s_delay_alu instid0(SALU_CYCLE_1)
	s_xor_b32 s5, exec_lo, s7
	s_cbranch_execz .LBB10_392
; %bb.389:
	v_mov_b32_e32 v1, 1
	s_xor_b32 s7, s4, -1
	s_delay_alu instid0(SALU_CYCLE_1)
	s_and_saveexec_b32 s4, s7
	s_cbranch_execz .LBB10_391
; %bb.390:
	s_wait_loadcnt 0x0
	v_mov_b64_e32 v[2:3], v[12:13]
	v_and_b32_e32 v1, 0xff, v39
.LBB10_391:
	s_or_b32 exec_lo, exec_lo, s4
                                        ; implicit-def: $vgpr12_vgpr13
.LBB10_392:
	s_and_not1_saveexec_b32 s5, s5
	s_cbranch_execz .LBB10_394
; %bb.393:
	s_wait_loadcnt 0x0
	s_delay_alu instid0(VALU_DEP_2) | instskip(NEXT) | instid1(VALU_DEP_1)
	v_cmp_lt_f32_e64 s4, v3, v13
	v_dual_mov_b32 v1, 1 :: v_dual_cndmask_b32 v3, v3, v13, s4
	v_cmp_lt_f32_e64 s4, v12, v2
	s_delay_alu instid0(VALU_DEP_1)
	v_cndmask_b32_e64 v2, v2, v12, s4
.LBB10_394:
	s_or_b32 exec_lo, exec_lo, s5
	s_delay_alu instid0(SALU_CYCLE_1)
	s_or_b32 exec_lo, exec_lo, s6
	s_and_saveexec_b32 s5, s3
	s_cbranch_execz .LBB10_284
.LBB10_395:
	s_wait_loadcnt 0x1
	v_and_b32_e32 v1, 1, v1
	v_and_b32_e32 v4, 1, v38
	s_delay_alu instid0(VALU_DEP_2) | instskip(NEXT) | instid1(VALU_DEP_2)
	v_cmp_eq_u32_e64 s3, 1, v1
	v_cmp_eq_u32_e64 s4, 1, v4
                                        ; implicit-def: $vgpr1
	s_and_b32 s4, s3, s4
	s_delay_alu instid0(SALU_CYCLE_1) | instskip(NEXT) | instid1(SALU_CYCLE_1)
	s_xor_b32 s4, s4, -1
	s_and_saveexec_b32 s6, s4
	s_delay_alu instid0(SALU_CYCLE_1)
	s_xor_b32 s4, exec_lo, s6
	s_cbranch_execz .LBB10_399
; %bb.396:
	v_mov_b32_e32 v1, 1
	s_xor_b32 s6, s3, -1
	s_delay_alu instid0(SALU_CYCLE_1)
	s_and_saveexec_b32 s3, s6
	s_cbranch_execz .LBB10_398
; %bb.397:
	s_wait_loadcnt 0x0
	v_mov_b64_e32 v[2:3], v[10:11]
	v_and_b32_e32 v1, 0xff, v38
.LBB10_398:
	s_or_b32 exec_lo, exec_lo, s3
                                        ; implicit-def: $vgpr10_vgpr11
.LBB10_399:
	s_and_not1_saveexec_b32 s4, s4
	s_cbranch_execz .LBB10_401
; %bb.400:
	s_wait_loadcnt 0x0
	s_delay_alu instid0(VALU_DEP_2) | instskip(NEXT) | instid1(VALU_DEP_1)
	v_cmp_lt_f32_e64 s3, v3, v11
	v_dual_mov_b32 v1, 1 :: v_dual_cndmask_b32 v3, v3, v11, s3
	v_cmp_lt_f32_e64 s3, v10, v2
	s_delay_alu instid0(VALU_DEP_1)
	v_cndmask_b32_e64 v2, v2, v10, s3
.LBB10_401:
	s_or_b32 exec_lo, exec_lo, s4
	s_delay_alu instid0(SALU_CYCLE_1)
	s_or_b32 exec_lo, exec_lo, s5
	s_and_saveexec_b32 s4, s2
	s_cbranch_execz .LBB10_285
.LBB10_402:
	s_wait_loadcnt 0x1
	v_and_b32_e32 v1, 1, v1
	v_and_b32_e32 v4, 1, v37
	s_delay_alu instid0(VALU_DEP_2) | instskip(NEXT) | instid1(VALU_DEP_2)
	v_cmp_eq_u32_e64 s2, 1, v1
	v_cmp_eq_u32_e64 s3, 1, v4
                                        ; implicit-def: $vgpr1
	s_and_b32 s3, s2, s3
	s_delay_alu instid0(SALU_CYCLE_1) | instskip(NEXT) | instid1(SALU_CYCLE_1)
	s_xor_b32 s3, s3, -1
	s_and_saveexec_b32 s5, s3
	s_delay_alu instid0(SALU_CYCLE_1)
	s_xor_b32 s3, exec_lo, s5
	s_cbranch_execz .LBB10_406
; %bb.403:
	v_mov_b32_e32 v1, 1
	s_xor_b32 s5, s2, -1
	s_delay_alu instid0(SALU_CYCLE_1)
	s_and_saveexec_b32 s2, s5
	s_cbranch_execz .LBB10_405
; %bb.404:
	s_wait_loadcnt 0x0
	v_mov_b64_e32 v[2:3], v[8:9]
	v_and_b32_e32 v1, 0xff, v37
.LBB10_405:
	s_or_b32 exec_lo, exec_lo, s2
                                        ; implicit-def: $vgpr8_vgpr9
.LBB10_406:
	s_and_not1_saveexec_b32 s3, s3
	s_cbranch_execz .LBB10_408
; %bb.407:
	s_wait_loadcnt 0x0
	s_delay_alu instid0(VALU_DEP_2) | instskip(NEXT) | instid1(VALU_DEP_1)
	v_cmp_lt_f32_e64 s2, v3, v9
	v_dual_mov_b32 v1, 1 :: v_dual_cndmask_b32 v3, v3, v9, s2
	v_cmp_lt_f32_e64 s2, v8, v2
	s_delay_alu instid0(VALU_DEP_1)
	v_cndmask_b32_e64 v2, v2, v8, s2
.LBB10_408:
	s_or_b32 exec_lo, exec_lo, s3
	s_delay_alu instid0(SALU_CYCLE_1)
	s_or_b32 exec_lo, exec_lo, s4
	s_and_saveexec_b32 s3, vcc_lo
	s_cbranch_execz .LBB10_416
.LBB10_409:
	s_wait_loadcnt 0x1
	v_and_b32_e32 v1, 1, v1
	v_and_b32_e32 v4, 1, v36
	s_delay_alu instid0(VALU_DEP_2) | instskip(NEXT) | instid1(VALU_DEP_2)
	v_cmp_eq_u32_e32 vcc_lo, 1, v1
	v_cmp_eq_u32_e64 s2, 1, v4
                                        ; implicit-def: $vgpr1
	s_and_b32 s2, vcc_lo, s2
	s_delay_alu instid0(SALU_CYCLE_1) | instskip(NEXT) | instid1(SALU_CYCLE_1)
	s_xor_b32 s2, s2, -1
	s_and_saveexec_b32 s4, s2
	s_delay_alu instid0(SALU_CYCLE_1)
	s_xor_b32 s2, exec_lo, s4
	s_cbranch_execz .LBB10_413
; %bb.410:
	v_mov_b32_e32 v1, 1
	s_xor_b32 s5, vcc_lo, -1
	s_delay_alu instid0(SALU_CYCLE_1)
	s_and_saveexec_b32 s4, s5
	s_cbranch_execz .LBB10_412
; %bb.411:
	s_wait_loadcnt 0x0
	v_mov_b64_e32 v[2:3], v[6:7]
	v_and_b32_e32 v1, 0xff, v36
.LBB10_412:
	s_or_b32 exec_lo, exec_lo, s4
                                        ; implicit-def: $vgpr6_vgpr7
.LBB10_413:
	s_and_not1_saveexec_b32 s2, s2
	s_cbranch_execz .LBB10_415
; %bb.414:
	s_wait_loadcnt 0x0
	s_delay_alu instid0(VALU_DEP_2)
	v_cmp_lt_f32_e32 vcc_lo, v3, v7
	v_dual_mov_b32 v1, 1 :: v_dual_cndmask_b32 v3, v3, v7, vcc_lo
	v_cmp_lt_f32_e32 vcc_lo, v6, v2
	v_cndmask_b32_e32 v2, v2, v6, vcc_lo
.LBB10_415:
	s_or_b32 exec_lo, exec_lo, s2
.LBB10_416:
	s_delay_alu instid0(SALU_CYCLE_1)
	s_or_b32 exec_lo, exec_lo, s3
	s_wait_loadcnt 0x0
	v_mbcnt_lo_u32_b32 v6, -1, 0
	v_and_b32_e32 v7, 0x60, v0
	s_min_u32 s2, s28, 0x80
	v_mov_b32_e32 v10, v3
	s_delay_alu instid0(VALU_DEP_3) | instskip(SKIP_3) | instid1(VALU_DEP_2)
	v_cmp_ne_u32_e32 vcc_lo, 31, v6
	v_add_nc_u32_e32 v9, 1, v6
	v_sub_nc_u32_e64 v7, s2, v7 clamp
	v_add_co_ci_u32_e64 v4, null, 0, v6, vcc_lo
	v_cmp_lt_u32_e32 vcc_lo, v9, v7
	s_delay_alu instid0(VALU_DEP_2) | instskip(SKIP_4) | instid1(SALU_CYCLE_1)
	v_dual_mov_b32 v9, v2 :: v_dual_lshlrev_b32 v5, 2, v4
	ds_bpermute_b32 v8, v5, v1
	ds_bpermute_b32 v4, v5, v2
	;; [unrolled: 1-line block ×3, first 2 shown]
	s_and_saveexec_b32 s3, vcc_lo
	s_xor_b32 s3, exec_lo, s3
	s_cbranch_execz .LBB10_424
; %bb.417:
	s_wait_dscnt 0x2
	v_and_b32_e32 v9, v8, v1
	s_mov_b32 s4, exec_lo
	s_delay_alu instid0(VALU_DEP_1)
	v_cmpx_ne_u32_e32 0, v9
	s_xor_b32 s4, exec_lo, s4
	s_cbranch_execz .LBB10_419
; %bb.418:
	s_wait_dscnt 0x0
	v_cmp_lt_f32_e32 vcc_lo, v3, v5
                                        ; implicit-def: $vgpr8
                                        ; implicit-def: $vgpr1
	v_cndmask_b32_e32 v5, v3, v5, vcc_lo
	v_cmp_lt_f32_e32 vcc_lo, v4, v2
	v_cndmask_b32_e32 v4, v2, v4, vcc_lo
                                        ; implicit-def: $vgpr2_vgpr3
.LBB10_419:
	s_or_saveexec_b32 s4, s4
	v_mov_b32_e32 v9, 1
	s_xor_b32 exec_lo, exec_lo, s4
	s_cbranch_execz .LBB10_423
; %bb.420:
	v_and_b32_e32 v1, 1, v1
	s_mov_b32 s5, exec_lo
	s_delay_alu instid0(VALU_DEP_1)
	v_cmpx_eq_u32_e32 1, v1
	s_cbranch_execz .LBB10_422
; %bb.421:
	s_wait_dscnt 0x0
	v_mov_b64_e32 v[4:5], v[2:3]
	v_mov_b32_e32 v8, 1
.LBB10_422:
	s_or_b32 exec_lo, exec_lo, s5
	s_delay_alu instid0(VALU_DEP_1)
	v_mov_b32_e32 v9, v8
.LBB10_423:
	s_or_b32 exec_lo, exec_lo, s4
	s_wait_dscnt 0x0
	s_delay_alu instid0(VALU_DEP_3) | instskip(NEXT) | instid1(VALU_DEP_2)
	v_mov_b64_e32 v[2:3], v[4:5]
	v_and_b32_e32 v1, 0xff, v9
	v_dual_mov_b32 v9, v4 :: v_dual_mov_b32 v10, v5
.LBB10_424:
	s_or_b32 exec_lo, exec_lo, s3
	v_cmp_gt_u32_e32 vcc_lo, 30, v6
	v_add_nc_u32_e32 v11, 2, v6
	s_mov_b32 s3, exec_lo
	s_wait_dscnt 0x1
	v_cndmask_b32_e64 v4, 0, 2, vcc_lo
	s_wait_dscnt 0x0
	s_delay_alu instid0(VALU_DEP_1)
	v_add_lshl_u32 v5, v4, v6, 2
	ds_bpermute_b32 v8, v5, v1
	ds_bpermute_b32 v4, v5, v9
	;; [unrolled: 1-line block ×3, first 2 shown]
	v_cmpx_lt_u32_e64 v11, v7
	s_cbranch_execz .LBB10_432
; %bb.425:
	s_wait_dscnt 0x2
	v_and_b32_e32 v9, v1, v8
	s_mov_b32 s4, exec_lo
	s_delay_alu instid0(VALU_DEP_1) | instskip(NEXT) | instid1(VALU_DEP_1)
	v_and_b32_e32 v9, 1, v9
	v_cmpx_eq_u32_e32 1, v9
	s_xor_b32 s4, exec_lo, s4
	s_cbranch_execz .LBB10_427
; %bb.426:
	s_wait_dscnt 0x0
	v_cmp_lt_f32_e32 vcc_lo, v3, v5
                                        ; implicit-def: $vgpr8
                                        ; implicit-def: $vgpr1
	v_cndmask_b32_e32 v5, v3, v5, vcc_lo
	v_cmp_lt_f32_e32 vcc_lo, v4, v2
	v_cndmask_b32_e32 v4, v2, v4, vcc_lo
                                        ; implicit-def: $vgpr2_vgpr3
.LBB10_427:
	s_or_saveexec_b32 s4, s4
	v_mov_b32_e32 v9, 1
	s_xor_b32 exec_lo, exec_lo, s4
	s_cbranch_execz .LBB10_431
; %bb.428:
	v_and_b32_e32 v1, 1, v1
	s_mov_b32 s5, exec_lo
	s_delay_alu instid0(VALU_DEP_1)
	v_cmpx_eq_u32_e32 1, v1
	s_cbranch_execz .LBB10_430
; %bb.429:
	s_wait_dscnt 0x0
	v_mov_b64_e32 v[4:5], v[2:3]
	v_mov_b32_e32 v8, 1
.LBB10_430:
	s_or_b32 exec_lo, exec_lo, s5
	s_delay_alu instid0(VALU_DEP_1)
	v_mov_b32_e32 v9, v8
.LBB10_431:
	s_or_b32 exec_lo, exec_lo, s4
	s_wait_dscnt 0x0
	s_delay_alu instid0(VALU_DEP_3) | instskip(NEXT) | instid1(VALU_DEP_2)
	v_mov_b64_e32 v[2:3], v[4:5]
	v_and_b32_e32 v1, 0xff, v9
	v_dual_mov_b32 v9, v4 :: v_dual_mov_b32 v10, v5
.LBB10_432:
	s_or_b32 exec_lo, exec_lo, s3
	v_cmp_gt_u32_e32 vcc_lo, 28, v6
	v_add_nc_u32_e32 v11, 4, v6
	s_mov_b32 s3, exec_lo
	s_wait_dscnt 0x1
	v_cndmask_b32_e64 v4, 0, 4, vcc_lo
	s_wait_dscnt 0x0
	s_delay_alu instid0(VALU_DEP_1)
	v_add_lshl_u32 v5, v4, v6, 2
	ds_bpermute_b32 v8, v5, v1
	ds_bpermute_b32 v4, v5, v9
	;; [unrolled: 1-line block ×3, first 2 shown]
	v_cmpx_lt_u32_e64 v11, v7
	s_cbranch_execz .LBB10_440
; %bb.433:
	s_wait_dscnt 0x2
	v_and_b32_e32 v9, v1, v8
	s_mov_b32 s4, exec_lo
	s_delay_alu instid0(VALU_DEP_1) | instskip(NEXT) | instid1(VALU_DEP_1)
	v_and_b32_e32 v9, 1, v9
	v_cmpx_eq_u32_e32 1, v9
	s_xor_b32 s4, exec_lo, s4
	s_cbranch_execz .LBB10_435
; %bb.434:
	s_wait_dscnt 0x1
	v_cmp_gt_f32_e32 vcc_lo, v2, v4
                                        ; implicit-def: $vgpr8
                                        ; implicit-def: $vgpr1
	v_cndmask_b32_e32 v4, v2, v4, vcc_lo
	s_wait_dscnt 0x0
	v_cmp_lt_f32_e32 vcc_lo, v3, v5
	v_cndmask_b32_e32 v5, v3, v5, vcc_lo
                                        ; implicit-def: $vgpr2_vgpr3
.LBB10_435:
	s_or_saveexec_b32 s4, s4
	v_mov_b32_e32 v9, 1
	s_xor_b32 exec_lo, exec_lo, s4
	s_cbranch_execz .LBB10_439
; %bb.436:
	v_and_b32_e32 v1, 1, v1
	s_mov_b32 s5, exec_lo
	s_delay_alu instid0(VALU_DEP_1)
	v_cmpx_eq_u32_e32 1, v1
	s_cbranch_execz .LBB10_438
; %bb.437:
	s_wait_dscnt 0x0
	v_mov_b64_e32 v[4:5], v[2:3]
	v_mov_b32_e32 v8, 1
.LBB10_438:
	s_or_b32 exec_lo, exec_lo, s5
	s_delay_alu instid0(VALU_DEP_1)
	v_mov_b32_e32 v9, v8
.LBB10_439:
	s_or_b32 exec_lo, exec_lo, s4
	s_wait_dscnt 0x0
	s_delay_alu instid0(VALU_DEP_3) | instskip(NEXT) | instid1(VALU_DEP_2)
	v_mov_b64_e32 v[2:3], v[4:5]
	v_and_b32_e32 v1, 0xff, v9
	v_dual_mov_b32 v9, v4 :: v_dual_mov_b32 v10, v5
.LBB10_440:
	s_or_b32 exec_lo, exec_lo, s3
	v_cmp_gt_u32_e32 vcc_lo, 24, v6
	v_add_nc_u32_e32 v11, 8, v6
	s_mov_b32 s3, exec_lo
	s_wait_dscnt 0x1
	v_cndmask_b32_e64 v4, 0, 8, vcc_lo
	s_wait_dscnt 0x0
	s_delay_alu instid0(VALU_DEP_1)
	v_add_lshl_u32 v5, v4, v6, 2
	ds_bpermute_b32 v8, v5, v1
	ds_bpermute_b32 v4, v5, v9
	;; [unrolled: 1-line block ×3, first 2 shown]
	v_cmpx_lt_u32_e64 v11, v7
	s_cbranch_execz .LBB10_448
; %bb.441:
	s_wait_dscnt 0x2
	v_and_b32_e32 v9, v1, v8
	s_mov_b32 s4, exec_lo
	s_delay_alu instid0(VALU_DEP_1) | instskip(NEXT) | instid1(VALU_DEP_1)
	v_and_b32_e32 v9, 1, v9
	v_cmpx_eq_u32_e32 1, v9
	s_xor_b32 s4, exec_lo, s4
	s_cbranch_execz .LBB10_443
; %bb.442:
	s_wait_dscnt 0x0
	v_cmp_gt_f32_e32 vcc_lo, v5, v3
                                        ; implicit-def: $vgpr8
                                        ; implicit-def: $vgpr1
	v_cndmask_b32_e32 v5, v3, v5, vcc_lo
	v_cmp_gt_f32_e32 vcc_lo, v2, v4
	v_cndmask_b32_e32 v4, v2, v4, vcc_lo
                                        ; implicit-def: $vgpr2_vgpr3
.LBB10_443:
	s_or_saveexec_b32 s4, s4
	v_mov_b32_e32 v9, 1
	s_xor_b32 exec_lo, exec_lo, s4
	s_cbranch_execz .LBB10_447
; %bb.444:
	v_and_b32_e32 v1, 1, v1
	s_mov_b32 s5, exec_lo
	s_delay_alu instid0(VALU_DEP_1)
	v_cmpx_eq_u32_e32 1, v1
	s_cbranch_execz .LBB10_446
; %bb.445:
	s_wait_dscnt 0x0
	v_mov_b64_e32 v[4:5], v[2:3]
	v_mov_b32_e32 v8, 1
.LBB10_446:
	s_or_b32 exec_lo, exec_lo, s5
	s_delay_alu instid0(VALU_DEP_1)
	v_mov_b32_e32 v9, v8
.LBB10_447:
	s_or_b32 exec_lo, exec_lo, s4
	s_wait_dscnt 0x0
	s_delay_alu instid0(VALU_DEP_3) | instskip(NEXT) | instid1(VALU_DEP_2)
	v_mov_b64_e32 v[2:3], v[4:5]
	v_and_b32_e32 v1, 0xff, v9
	v_dual_mov_b32 v9, v4 :: v_dual_mov_b32 v10, v5
.LBB10_448:
	s_or_b32 exec_lo, exec_lo, s3
	s_wait_dscnt 0x2
	v_lshlrev_b32_e32 v8, 2, v6
	s_wait_dscnt 0x0
	s_delay_alu instid0(VALU_DEP_1) | instskip(SKIP_2) | instid1(VALU_DEP_1)
	v_or_b32_e32 v5, 64, v8
	ds_bpermute_b32 v4, v5, v9
	v_add_nc_u32_e32 v9, 16, v6
	v_cmp_lt_u32_e32 vcc_lo, v9, v7
	v_mov_b32_e32 v7, v1
	ds_bpermute_b32 v11, v5, v1
	ds_bpermute_b32 v5, v5, v10
	s_and_saveexec_b32 s3, vcc_lo
	s_cbranch_execz .LBB10_456
; %bb.449:
	s_wait_dscnt 0x1
	v_and_b32_e32 v7, v1, v11
	s_mov_b32 s4, exec_lo
	s_delay_alu instid0(VALU_DEP_1) | instskip(NEXT) | instid1(VALU_DEP_1)
	v_and_b32_e32 v7, 1, v7
	v_cmpx_eq_u32_e32 1, v7
	s_xor_b32 s4, exec_lo, s4
	s_cbranch_execz .LBB10_451
; %bb.450:
	s_wait_dscnt 0x0
	v_cmp_gt_f32_e32 vcc_lo, v5, v3
                                        ; implicit-def: $vgpr11
                                        ; implicit-def: $vgpr1
	v_cndmask_b32_e32 v5, v3, v5, vcc_lo
	v_cmp_gt_f32_e32 vcc_lo, v2, v4
	v_cndmask_b32_e32 v4, v2, v4, vcc_lo
                                        ; implicit-def: $vgpr2_vgpr3
.LBB10_451:
	s_or_saveexec_b32 s4, s4
	v_mov_b32_e32 v7, 1
	s_xor_b32 exec_lo, exec_lo, s4
	s_cbranch_execz .LBB10_455
; %bb.452:
	v_and_b32_e32 v1, 1, v1
	s_mov_b32 s5, exec_lo
	s_delay_alu instid0(VALU_DEP_1)
	v_cmpx_eq_u32_e32 1, v1
	s_cbranch_execz .LBB10_454
; %bb.453:
	s_wait_dscnt 0x0
	v_mov_b64_e32 v[4:5], v[2:3]
	v_mov_b32_e32 v11, 1
.LBB10_454:
	s_or_b32 exec_lo, exec_lo, s5
	s_delay_alu instid0(VALU_DEP_1)
	v_mov_b32_e32 v7, v11
.LBB10_455:
	s_or_b32 exec_lo, exec_lo, s4
	s_wait_dscnt 0x0
	s_delay_alu instid0(VALU_DEP_3) | instskip(NEXT) | instid1(VALU_DEP_2)
	v_mov_b64_e32 v[2:3], v[4:5]
	v_and_b32_e32 v1, 0xff, v7
.LBB10_456:
	s_or_b32 exec_lo, exec_lo, s3
	s_delay_alu instid0(SALU_CYCLE_1)
	s_mov_b32 s3, exec_lo
	v_cmpx_eq_u32_e32 0, v6
	s_cbranch_execz .LBB10_458
; %bb.457:
	s_wait_dscnt 0x2
	v_lshrrev_b32_e32 v4, 5, v0
	s_delay_alu instid0(VALU_DEP_1)
	v_mul_u32_u24_e32 v4, 12, v4
	ds_store_b8 v4, v7
	ds_store_2addr_b32 v4, v2, v3 offset0:1 offset1:2
.LBB10_458:
	s_or_b32 exec_lo, exec_lo, s3
	s_delay_alu instid0(SALU_CYCLE_1)
	s_mov_b32 s3, exec_lo
	s_wait_dscnt 0x0
	s_barrier_signal -1
	s_barrier_wait -1
	v_cmpx_gt_u32_e32 4, v0
	s_cbranch_execz .LBB10_476
; %bb.459:
	v_mul_u32_u24_e32 v1, 12, v6
	v_and_b32_e32 v7, 3, v6
	s_add_co_i32 s2, s2, 31
	ds_load_u8 v9, v1
	ds_load_2addr_b32 v[2:3], v1 offset0:1 offset1:2
	v_cmp_ne_u32_e32 vcc_lo, 3, v7
	s_lshr_b32 s2, s2, 5
	v_add_co_ci_u32_e64 v1, null, 0, v6, vcc_lo
	s_delay_alu instid0(VALU_DEP_1)
	v_dual_lshlrev_b32 v5, 2, v1 :: v_dual_add_nc_u32 v10, 1, v7
	s_wait_dscnt 0x1
	v_and_b32_e32 v1, 0xff, v9
	s_wait_dscnt 0x0
	ds_bpermute_b32 v4, v5, v2
	v_mov_b32_e32 v11, v3
	v_cmp_gt_u32_e32 vcc_lo, s2, v10
	v_mov_b32_e32 v10, v2
	ds_bpermute_b32 v6, v5, v1
	ds_bpermute_b32 v5, v5, v3
	s_and_saveexec_b32 s4, vcc_lo
	s_cbranch_execz .LBB10_467
; %bb.460:
	s_wait_dscnt 0x1
	v_and_b32_e32 v1, v1, v6
	s_mov_b32 s5, exec_lo
	s_delay_alu instid0(VALU_DEP_1) | instskip(NEXT) | instid1(VALU_DEP_1)
	v_and_b32_e32 v1, 1, v1
	v_cmpx_eq_u32_e32 1, v1
	s_xor_b32 s5, exec_lo, s5
	s_cbranch_execz .LBB10_462
; %bb.461:
	s_wait_dscnt 0x0
	v_cmp_gt_f32_e32 vcc_lo, v5, v3
                                        ; implicit-def: $vgpr6
                                        ; implicit-def: $vgpr9
	v_cndmask_b32_e32 v5, v3, v5, vcc_lo
	v_cmp_gt_f32_e32 vcc_lo, v2, v4
	v_cndmask_b32_e32 v4, v2, v4, vcc_lo
                                        ; implicit-def: $vgpr2_vgpr3
.LBB10_462:
	s_or_saveexec_b32 s5, s5
	v_mov_b32_e32 v1, 1
	s_xor_b32 exec_lo, exec_lo, s5
	s_cbranch_execz .LBB10_466
; %bb.463:
	v_and_b32_e32 v1, 1, v9
	s_mov_b32 s6, exec_lo
	s_delay_alu instid0(VALU_DEP_1)
	v_cmpx_eq_u32_e32 1, v1
	s_cbranch_execz .LBB10_465
; %bb.464:
	s_wait_dscnt 0x0
	v_mov_b64_e32 v[4:5], v[2:3]
	v_mov_b32_e32 v6, 1
.LBB10_465:
	s_or_b32 exec_lo, exec_lo, s6
	s_delay_alu instid0(VALU_DEP_1)
	v_mov_b32_e32 v1, v6
.LBB10_466:
	s_or_b32 exec_lo, exec_lo, s5
	s_wait_dscnt 0x0
	s_delay_alu instid0(VALU_DEP_3) | instskip(NEXT) | instid1(VALU_DEP_2)
	v_mov_b64_e32 v[2:3], v[4:5]
	v_and_b32_e32 v1, 0xff, v1
	v_dual_mov_b32 v10, v4 :: v_dual_mov_b32 v11, v5
.LBB10_467:
	s_or_b32 exec_lo, exec_lo, s4
	s_wait_dscnt 0x0
	v_dual_add_nc_u32 v7, 2, v7 :: v_dual_bitop2_b32 v5, 8, v8 bitop3:0x54
	ds_bpermute_b32 v6, v5, v1
	ds_bpermute_b32 v4, v5, v10
	;; [unrolled: 1-line block ×3, first 2 shown]
	v_cmp_gt_u32_e32 vcc_lo, s2, v7
	s_and_saveexec_b32 s2, vcc_lo
	s_cbranch_execz .LBB10_475
; %bb.468:
	s_wait_dscnt 0x2
	v_and_b32_e32 v7, v1, v6
	s_mov_b32 s4, exec_lo
	s_delay_alu instid0(VALU_DEP_1) | instskip(NEXT) | instid1(VALU_DEP_1)
	v_and_b32_e32 v7, 1, v7
	v_cmpx_eq_u32_e32 1, v7
	s_xor_b32 s4, exec_lo, s4
	s_cbranch_execz .LBB10_470
; %bb.469:
	s_wait_dscnt 0x0
	v_cmp_gt_f32_e32 vcc_lo, v5, v3
                                        ; implicit-def: $vgpr6
                                        ; implicit-def: $vgpr1
	v_cndmask_b32_e32 v5, v3, v5, vcc_lo
	v_cmp_gt_f32_e32 vcc_lo, v2, v4
	v_cndmask_b32_e32 v4, v2, v4, vcc_lo
                                        ; implicit-def: $vgpr2_vgpr3
.LBB10_470:
	s_or_saveexec_b32 s4, s4
	v_mov_b32_e32 v7, 1
	s_xor_b32 exec_lo, exec_lo, s4
	s_cbranch_execz .LBB10_474
; %bb.471:
	v_and_b32_e32 v1, 1, v1
	s_mov_b32 s5, exec_lo
	s_delay_alu instid0(VALU_DEP_1)
	v_cmpx_eq_u32_e32 1, v1
	s_cbranch_execz .LBB10_473
; %bb.472:
	s_wait_dscnt 0x0
	v_mov_b64_e32 v[4:5], v[2:3]
	v_mov_b32_e32 v6, 1
.LBB10_473:
	s_or_b32 exec_lo, exec_lo, s5
	s_delay_alu instid0(VALU_DEP_1)
	v_mov_b32_e32 v7, v6
.LBB10_474:
	s_or_b32 exec_lo, exec_lo, s4
	s_wait_dscnt 0x0
	s_delay_alu instid0(VALU_DEP_3) | instskip(NEXT) | instid1(VALU_DEP_2)
	v_mov_b64_e32 v[2:3], v[4:5]
	v_mov_b32_e32 v1, v7
.LBB10_475:
	s_or_b32 exec_lo, exec_lo, s2
.LBB10_476:
	s_delay_alu instid0(SALU_CYCLE_1)
	s_or_b32 exec_lo, exec_lo, s3
.LBB10_477:
	s_mov_b32 s9, 0
	s_mov_b32 s2, exec_lo
                                        ; implicit-def: $vgpr4_vgpr5
                                        ; implicit-def: $vgpr7
	v_cmpx_eq_u32_e32 0, v0
	s_xor_b32 s2, exec_lo, s2
	s_cbranch_execz .LBB10_485
; %bb.478:
	s_wait_dscnt 0x0
	v_mov_b64_e32 v[4:5], s[18:19]
	v_mov_b32_e32 v7, s17
	s_cmp_eq_u64 s[22:23], 0
	s_cbranch_scc1 .LBB10_484
; %bb.479:
	v_and_b32_e32 v4, 1, v1
	s_bitcmp1_b32 s17, 0
                                        ; implicit-def: $vgpr7
	s_cselect_b32 s4, -1, 0
	s_delay_alu instid0(VALU_DEP_1) | instskip(SKIP_1) | instid1(SALU_CYCLE_1)
	v_cmp_eq_u32_e32 vcc_lo, 1, v4
                                        ; implicit-def: $vgpr4_vgpr5
	s_and_b32 s3, s4, vcc_lo
	s_xor_b32 s3, s3, -1
	s_delay_alu instid0(SALU_CYCLE_1) | instskip(NEXT) | instid1(SALU_CYCLE_1)
	s_and_saveexec_b32 s5, s3
	s_xor_b32 s3, exec_lo, s5
; %bb.480:
	v_cndmask_b32_e64 v7, v1, 1, s4
	v_cndmask_b32_e64 v5, v3, s19, s4
	;; [unrolled: 1-line block ×3, first 2 shown]
                                        ; implicit-def: $vgpr2_vgpr3
; %bb.481:
	s_and_not1_saveexec_b32 s3, s3
; %bb.482:
	v_cmp_lt_f32_e32 vcc_lo, s19, v3
	v_dual_mov_b32 v7, 1 :: v_dual_cndmask_b32 v5, s19, v3, vcc_lo
	v_cmp_gt_f32_e32 vcc_lo, s18, v2
	v_cndmask_b32_e32 v4, s18, v2, vcc_lo
; %bb.483:
	s_or_b32 exec_lo, exec_lo, s3
.LBB10_484:
	s_delay_alu instid0(SALU_CYCLE_1)
	s_mov_b32 s9, exec_lo
.LBB10_485:
	s_or_b32 exec_lo, exec_lo, s2
	s_delay_alu instid0(SALU_CYCLE_1)
	s_and_b32 vcc_lo, exec_lo, s27
	s_cbranch_vccnz .LBB10_146
.LBB10_486:
	s_branch .LBB10_675
.LBB10_487:
	s_clause 0x1
	global_load_u8 v20, v[4:5], off offset:10752
	global_load_b64 v[6:7], v[4:5], off offset:10756
	s_wait_xcnt 0x0
	s_or_b32 exec_lo, exec_lo, s8
	s_and_saveexec_b32 s11, s7
	s_cbranch_execz .LBB10_304
.LBB10_488:
	s_wait_loadcnt 0x1
	v_and_b32_e32 v1, 1, v1
	v_and_b32_e32 v4, 1, v26
	s_delay_alu instid0(VALU_DEP_2) | instskip(NEXT) | instid1(VALU_DEP_2)
	v_cmp_eq_u32_e64 s7, 1, v1
	v_cmp_eq_u32_e64 s8, 1, v4
                                        ; implicit-def: $vgpr1
	s_and_b32 s8, s7, s8
	s_delay_alu instid0(SALU_CYCLE_1) | instskip(NEXT) | instid1(SALU_CYCLE_1)
	s_xor_b32 s8, s8, -1
	s_and_saveexec_b32 s12, s8
	s_delay_alu instid0(SALU_CYCLE_1)
	s_xor_b32 s8, exec_lo, s12
	s_cbranch_execz .LBB10_492
; %bb.489:
	v_mov_b32_e32 v1, 1
	s_xor_b32 s12, s7, -1
	s_delay_alu instid0(SALU_CYCLE_1)
	s_and_saveexec_b32 s7, s12
	s_cbranch_execz .LBB10_491
; %bb.490:
	s_wait_loadcnt 0x0
	v_mov_b64_e32 v[2:3], v[18:19]
	v_and_b32_e32 v1, 0xff, v26
.LBB10_491:
	s_or_b32 exec_lo, exec_lo, s7
                                        ; implicit-def: $vgpr18_vgpr19
.LBB10_492:
	s_and_not1_saveexec_b32 s8, s8
	s_cbranch_execz .LBB10_494
; %bb.493:
	s_wait_loadcnt 0x0
	s_delay_alu instid0(VALU_DEP_2) | instskip(NEXT) | instid1(VALU_DEP_1)
	v_cmp_lt_f32_e64 s7, v3, v19
	v_dual_mov_b32 v1, 1 :: v_dual_cndmask_b32 v3, v3, v19, s7
	v_cmp_lt_f32_e64 s7, v18, v2
	s_delay_alu instid0(VALU_DEP_1)
	v_cndmask_b32_e64 v2, v2, v18, s7
.LBB10_494:
	s_or_b32 exec_lo, exec_lo, s8
	s_delay_alu instid0(SALU_CYCLE_1)
	s_or_b32 exec_lo, exec_lo, s11
	s_and_saveexec_b32 s8, s6
	s_cbranch_execz .LBB10_305
.LBB10_495:
	s_wait_loadcnt 0x1
	v_and_b32_e32 v1, 1, v1
	v_and_b32_e32 v4, 1, v25
	s_delay_alu instid0(VALU_DEP_2) | instskip(NEXT) | instid1(VALU_DEP_2)
	v_cmp_eq_u32_e64 s6, 1, v1
	v_cmp_eq_u32_e64 s7, 1, v4
                                        ; implicit-def: $vgpr1
	s_and_b32 s7, s6, s7
	s_delay_alu instid0(SALU_CYCLE_1) | instskip(NEXT) | instid1(SALU_CYCLE_1)
	s_xor_b32 s7, s7, -1
	s_and_saveexec_b32 s11, s7
	s_delay_alu instid0(SALU_CYCLE_1)
	s_xor_b32 s7, exec_lo, s11
	s_cbranch_execz .LBB10_499
; %bb.496:
	v_mov_b32_e32 v1, 1
	s_xor_b32 s11, s6, -1
	s_delay_alu instid0(SALU_CYCLE_1)
	s_and_saveexec_b32 s6, s11
	s_cbranch_execz .LBB10_498
; %bb.497:
	s_wait_loadcnt 0x0
	v_mov_b64_e32 v[2:3], v[16:17]
	v_and_b32_e32 v1, 0xff, v25
.LBB10_498:
	s_or_b32 exec_lo, exec_lo, s6
                                        ; implicit-def: $vgpr16_vgpr17
.LBB10_499:
	s_and_not1_saveexec_b32 s7, s7
	s_cbranch_execz .LBB10_501
; %bb.500:
	s_wait_loadcnt 0x0
	s_delay_alu instid0(VALU_DEP_2) | instskip(NEXT) | instid1(VALU_DEP_1)
	v_cmp_lt_f32_e64 s6, v3, v17
	v_dual_mov_b32 v1, 1 :: v_dual_cndmask_b32 v3, v3, v17, s6
	v_cmp_lt_f32_e64 s6, v16, v2
	s_delay_alu instid0(VALU_DEP_1)
	v_cndmask_b32_e64 v2, v2, v16, s6
.LBB10_501:
	s_or_b32 exec_lo, exec_lo, s7
	s_delay_alu instid0(SALU_CYCLE_1)
	s_or_b32 exec_lo, exec_lo, s8
	s_and_saveexec_b32 s7, s5
	s_cbranch_execz .LBB10_306
.LBB10_502:
	s_wait_loadcnt 0x1
	v_and_b32_e32 v1, 1, v1
	v_and_b32_e32 v4, 1, v24
	s_delay_alu instid0(VALU_DEP_2) | instskip(NEXT) | instid1(VALU_DEP_2)
	v_cmp_eq_u32_e64 s5, 1, v1
	v_cmp_eq_u32_e64 s6, 1, v4
                                        ; implicit-def: $vgpr1
	s_and_b32 s6, s5, s6
	s_delay_alu instid0(SALU_CYCLE_1) | instskip(NEXT) | instid1(SALU_CYCLE_1)
	s_xor_b32 s6, s6, -1
	s_and_saveexec_b32 s8, s6
	s_delay_alu instid0(SALU_CYCLE_1)
	s_xor_b32 s6, exec_lo, s8
	s_cbranch_execz .LBB10_506
; %bb.503:
	v_mov_b32_e32 v1, 1
	s_xor_b32 s8, s5, -1
	s_delay_alu instid0(SALU_CYCLE_1)
	s_and_saveexec_b32 s5, s8
	s_cbranch_execz .LBB10_505
; %bb.504:
	s_wait_loadcnt 0x0
	v_mov_b64_e32 v[2:3], v[14:15]
	v_and_b32_e32 v1, 0xff, v24
.LBB10_505:
	s_or_b32 exec_lo, exec_lo, s5
                                        ; implicit-def: $vgpr14_vgpr15
.LBB10_506:
	s_and_not1_saveexec_b32 s6, s6
	s_cbranch_execz .LBB10_508
; %bb.507:
	s_wait_loadcnt 0x0
	s_delay_alu instid0(VALU_DEP_2) | instskip(NEXT) | instid1(VALU_DEP_1)
	v_cmp_lt_f32_e64 s5, v3, v15
	v_dual_mov_b32 v1, 1 :: v_dual_cndmask_b32 v3, v3, v15, s5
	v_cmp_lt_f32_e64 s5, v14, v2
	s_delay_alu instid0(VALU_DEP_1)
	v_cndmask_b32_e64 v2, v2, v14, s5
.LBB10_508:
	s_or_b32 exec_lo, exec_lo, s6
	s_delay_alu instid0(SALU_CYCLE_1)
	s_or_b32 exec_lo, exec_lo, s7
	s_and_saveexec_b32 s6, s4
	s_cbranch_execz .LBB10_307
.LBB10_509:
	s_wait_loadcnt 0x1
	v_and_b32_e32 v1, 1, v1
	v_and_b32_e32 v4, 1, v23
	s_delay_alu instid0(VALU_DEP_2) | instskip(NEXT) | instid1(VALU_DEP_2)
	v_cmp_eq_u32_e64 s4, 1, v1
	v_cmp_eq_u32_e64 s5, 1, v4
                                        ; implicit-def: $vgpr1
	s_and_b32 s5, s4, s5
	s_delay_alu instid0(SALU_CYCLE_1) | instskip(NEXT) | instid1(SALU_CYCLE_1)
	s_xor_b32 s5, s5, -1
	s_and_saveexec_b32 s7, s5
	s_delay_alu instid0(SALU_CYCLE_1)
	s_xor_b32 s5, exec_lo, s7
	s_cbranch_execz .LBB10_513
; %bb.510:
	v_mov_b32_e32 v1, 1
	s_xor_b32 s7, s4, -1
	s_delay_alu instid0(SALU_CYCLE_1)
	s_and_saveexec_b32 s4, s7
	s_cbranch_execz .LBB10_512
; %bb.511:
	s_wait_loadcnt 0x0
	v_mov_b64_e32 v[2:3], v[12:13]
	v_and_b32_e32 v1, 0xff, v23
.LBB10_512:
	s_or_b32 exec_lo, exec_lo, s4
                                        ; implicit-def: $vgpr12_vgpr13
.LBB10_513:
	s_and_not1_saveexec_b32 s5, s5
	s_cbranch_execz .LBB10_515
; %bb.514:
	s_wait_loadcnt 0x0
	s_delay_alu instid0(VALU_DEP_2) | instskip(NEXT) | instid1(VALU_DEP_1)
	v_cmp_lt_f32_e64 s4, v3, v13
	v_dual_mov_b32 v1, 1 :: v_dual_cndmask_b32 v3, v3, v13, s4
	v_cmp_lt_f32_e64 s4, v12, v2
	s_delay_alu instid0(VALU_DEP_1)
	v_cndmask_b32_e64 v2, v2, v12, s4
.LBB10_515:
	s_or_b32 exec_lo, exec_lo, s5
	s_delay_alu instid0(SALU_CYCLE_1)
	s_or_b32 exec_lo, exec_lo, s6
	s_and_saveexec_b32 s5, s3
	s_cbranch_execz .LBB10_308
.LBB10_516:
	s_wait_loadcnt 0x1
	v_and_b32_e32 v1, 1, v1
	v_and_b32_e32 v4, 1, v22
	s_delay_alu instid0(VALU_DEP_2) | instskip(NEXT) | instid1(VALU_DEP_2)
	v_cmp_eq_u32_e64 s3, 1, v1
	v_cmp_eq_u32_e64 s4, 1, v4
                                        ; implicit-def: $vgpr1
	s_and_b32 s4, s3, s4
	s_delay_alu instid0(SALU_CYCLE_1) | instskip(NEXT) | instid1(SALU_CYCLE_1)
	s_xor_b32 s4, s4, -1
	s_and_saveexec_b32 s6, s4
	s_delay_alu instid0(SALU_CYCLE_1)
	s_xor_b32 s4, exec_lo, s6
	s_cbranch_execz .LBB10_520
; %bb.517:
	v_mov_b32_e32 v1, 1
	s_xor_b32 s6, s3, -1
	s_delay_alu instid0(SALU_CYCLE_1)
	s_and_saveexec_b32 s3, s6
	s_cbranch_execz .LBB10_519
; %bb.518:
	s_wait_loadcnt 0x0
	v_mov_b64_e32 v[2:3], v[10:11]
	v_and_b32_e32 v1, 0xff, v22
.LBB10_519:
	s_or_b32 exec_lo, exec_lo, s3
                                        ; implicit-def: $vgpr10_vgpr11
.LBB10_520:
	s_and_not1_saveexec_b32 s4, s4
	s_cbranch_execz .LBB10_522
; %bb.521:
	s_wait_loadcnt 0x0
	s_delay_alu instid0(VALU_DEP_2) | instskip(NEXT) | instid1(VALU_DEP_1)
	v_cmp_lt_f32_e64 s3, v3, v11
	v_dual_mov_b32 v1, 1 :: v_dual_cndmask_b32 v3, v3, v11, s3
	v_cmp_lt_f32_e64 s3, v10, v2
	s_delay_alu instid0(VALU_DEP_1)
	v_cndmask_b32_e64 v2, v2, v10, s3
.LBB10_522:
	s_or_b32 exec_lo, exec_lo, s4
	s_delay_alu instid0(SALU_CYCLE_1)
	s_or_b32 exec_lo, exec_lo, s5
	s_and_saveexec_b32 s4, s2
	s_cbranch_execz .LBB10_309
.LBB10_523:
	s_wait_loadcnt 0x1
	v_and_b32_e32 v1, 1, v1
	v_and_b32_e32 v4, 1, v21
	s_delay_alu instid0(VALU_DEP_2) | instskip(NEXT) | instid1(VALU_DEP_2)
	v_cmp_eq_u32_e64 s2, 1, v1
	v_cmp_eq_u32_e64 s3, 1, v4
                                        ; implicit-def: $vgpr1
	s_and_b32 s3, s2, s3
	s_delay_alu instid0(SALU_CYCLE_1) | instskip(NEXT) | instid1(SALU_CYCLE_1)
	s_xor_b32 s3, s3, -1
	s_and_saveexec_b32 s5, s3
	s_delay_alu instid0(SALU_CYCLE_1)
	s_xor_b32 s3, exec_lo, s5
	s_cbranch_execz .LBB10_527
; %bb.524:
	v_mov_b32_e32 v1, 1
	s_xor_b32 s5, s2, -1
	s_delay_alu instid0(SALU_CYCLE_1)
	s_and_saveexec_b32 s2, s5
	s_cbranch_execz .LBB10_526
; %bb.525:
	s_wait_loadcnt 0x0
	v_mov_b64_e32 v[2:3], v[8:9]
	v_and_b32_e32 v1, 0xff, v21
.LBB10_526:
	s_or_b32 exec_lo, exec_lo, s2
                                        ; implicit-def: $vgpr8_vgpr9
.LBB10_527:
	s_and_not1_saveexec_b32 s3, s3
	s_cbranch_execz .LBB10_529
; %bb.528:
	s_wait_loadcnt 0x0
	s_delay_alu instid0(VALU_DEP_2) | instskip(NEXT) | instid1(VALU_DEP_1)
	v_cmp_lt_f32_e64 s2, v3, v9
	v_dual_mov_b32 v1, 1 :: v_dual_cndmask_b32 v3, v3, v9, s2
	v_cmp_lt_f32_e64 s2, v8, v2
	s_delay_alu instid0(VALU_DEP_1)
	v_cndmask_b32_e64 v2, v2, v8, s2
.LBB10_529:
	s_or_b32 exec_lo, exec_lo, s3
	s_delay_alu instid0(SALU_CYCLE_1)
	s_or_b32 exec_lo, exec_lo, s4
	s_and_saveexec_b32 s3, vcc_lo
	s_cbranch_execz .LBB10_537
.LBB10_530:
	s_wait_loadcnt 0x1
	v_and_b32_e32 v1, 1, v1
	v_and_b32_e32 v4, 1, v20
	s_delay_alu instid0(VALU_DEP_2) | instskip(NEXT) | instid1(VALU_DEP_2)
	v_cmp_eq_u32_e32 vcc_lo, 1, v1
	v_cmp_eq_u32_e64 s2, 1, v4
                                        ; implicit-def: $vgpr1
	s_and_b32 s2, vcc_lo, s2
	s_delay_alu instid0(SALU_CYCLE_1) | instskip(NEXT) | instid1(SALU_CYCLE_1)
	s_xor_b32 s2, s2, -1
	s_and_saveexec_b32 s4, s2
	s_delay_alu instid0(SALU_CYCLE_1)
	s_xor_b32 s2, exec_lo, s4
	s_cbranch_execz .LBB10_534
; %bb.531:
	v_mov_b32_e32 v1, 1
	s_xor_b32 s5, vcc_lo, -1
	s_delay_alu instid0(SALU_CYCLE_1)
	s_and_saveexec_b32 s4, s5
	s_cbranch_execz .LBB10_533
; %bb.532:
	s_wait_loadcnt 0x0
	v_mov_b64_e32 v[2:3], v[6:7]
	v_and_b32_e32 v1, 0xff, v20
.LBB10_533:
	s_or_b32 exec_lo, exec_lo, s4
                                        ; implicit-def: $vgpr6_vgpr7
.LBB10_534:
	s_and_not1_saveexec_b32 s2, s2
	s_cbranch_execz .LBB10_536
; %bb.535:
	s_wait_loadcnt 0x0
	s_delay_alu instid0(VALU_DEP_2)
	v_cmp_lt_f32_e32 vcc_lo, v3, v7
	v_dual_mov_b32 v1, 1 :: v_dual_cndmask_b32 v3, v3, v7, vcc_lo
	v_cmp_lt_f32_e32 vcc_lo, v6, v2
	v_cndmask_b32_e32 v2, v2, v6, vcc_lo
.LBB10_536:
	s_or_b32 exec_lo, exec_lo, s2
.LBB10_537:
	s_delay_alu instid0(SALU_CYCLE_1)
	s_or_b32 exec_lo, exec_lo, s3
	s_wait_loadcnt 0x0
	v_mbcnt_lo_u32_b32 v6, -1, 0
	v_and_b32_e32 v7, 0x60, v0
	s_min_u32 s2, s10, 0x80
	v_mov_b32_e32 v10, v3
	s_delay_alu instid0(VALU_DEP_3) | instskip(SKIP_3) | instid1(VALU_DEP_2)
	v_cmp_ne_u32_e32 vcc_lo, 31, v6
	v_add_nc_u32_e32 v9, 1, v6
	v_sub_nc_u32_e64 v7, s2, v7 clamp
	v_add_co_ci_u32_e64 v4, null, 0, v6, vcc_lo
	v_cmp_lt_u32_e32 vcc_lo, v9, v7
	s_delay_alu instid0(VALU_DEP_2) | instskip(SKIP_4) | instid1(SALU_CYCLE_1)
	v_dual_mov_b32 v9, v2 :: v_dual_lshlrev_b32 v5, 2, v4
	ds_bpermute_b32 v8, v5, v1
	ds_bpermute_b32 v4, v5, v2
	;; [unrolled: 1-line block ×3, first 2 shown]
	s_and_saveexec_b32 s3, vcc_lo
	s_xor_b32 s3, exec_lo, s3
	s_cbranch_execz .LBB10_545
; %bb.538:
	s_wait_dscnt 0x2
	v_and_b32_e32 v9, v8, v1
	s_mov_b32 s4, exec_lo
	s_delay_alu instid0(VALU_DEP_1)
	v_cmpx_ne_u32_e32 0, v9
	s_xor_b32 s4, exec_lo, s4
	s_cbranch_execz .LBB10_540
; %bb.539:
	s_wait_dscnt 0x0
	v_cmp_lt_f32_e32 vcc_lo, v3, v5
                                        ; implicit-def: $vgpr8
                                        ; implicit-def: $vgpr1
	v_cndmask_b32_e32 v5, v3, v5, vcc_lo
	v_cmp_lt_f32_e32 vcc_lo, v4, v2
	v_cndmask_b32_e32 v4, v2, v4, vcc_lo
                                        ; implicit-def: $vgpr2_vgpr3
.LBB10_540:
	s_or_saveexec_b32 s4, s4
	v_mov_b32_e32 v9, 1
	s_xor_b32 exec_lo, exec_lo, s4
	s_cbranch_execz .LBB10_544
; %bb.541:
	v_and_b32_e32 v1, 1, v1
	s_mov_b32 s5, exec_lo
	s_delay_alu instid0(VALU_DEP_1)
	v_cmpx_eq_u32_e32 1, v1
	s_cbranch_execz .LBB10_543
; %bb.542:
	s_wait_dscnt 0x0
	v_mov_b64_e32 v[4:5], v[2:3]
	v_mov_b32_e32 v8, 1
.LBB10_543:
	s_or_b32 exec_lo, exec_lo, s5
	s_delay_alu instid0(VALU_DEP_1)
	v_mov_b32_e32 v9, v8
.LBB10_544:
	s_or_b32 exec_lo, exec_lo, s4
	s_wait_dscnt 0x0
	s_delay_alu instid0(VALU_DEP_3) | instskip(NEXT) | instid1(VALU_DEP_2)
	v_mov_b64_e32 v[2:3], v[4:5]
	v_and_b32_e32 v1, 0xff, v9
	v_dual_mov_b32 v9, v4 :: v_dual_mov_b32 v10, v5
.LBB10_545:
	s_or_b32 exec_lo, exec_lo, s3
	v_cmp_gt_u32_e32 vcc_lo, 30, v6
	v_add_nc_u32_e32 v11, 2, v6
	s_mov_b32 s3, exec_lo
	s_wait_dscnt 0x1
	v_cndmask_b32_e64 v4, 0, 2, vcc_lo
	s_wait_dscnt 0x0
	s_delay_alu instid0(VALU_DEP_1)
	v_add_lshl_u32 v5, v4, v6, 2
	ds_bpermute_b32 v8, v5, v1
	ds_bpermute_b32 v4, v5, v9
	;; [unrolled: 1-line block ×3, first 2 shown]
	v_cmpx_lt_u32_e64 v11, v7
	s_cbranch_execz .LBB10_553
; %bb.546:
	s_wait_dscnt 0x2
	v_and_b32_e32 v9, v1, v8
	s_mov_b32 s4, exec_lo
	s_delay_alu instid0(VALU_DEP_1) | instskip(NEXT) | instid1(VALU_DEP_1)
	v_and_b32_e32 v9, 1, v9
	v_cmpx_eq_u32_e32 1, v9
	s_xor_b32 s4, exec_lo, s4
	s_cbranch_execz .LBB10_548
; %bb.547:
	s_wait_dscnt 0x0
	v_cmp_lt_f32_e32 vcc_lo, v3, v5
                                        ; implicit-def: $vgpr8
                                        ; implicit-def: $vgpr1
	v_cndmask_b32_e32 v5, v3, v5, vcc_lo
	v_cmp_lt_f32_e32 vcc_lo, v4, v2
	v_cndmask_b32_e32 v4, v2, v4, vcc_lo
                                        ; implicit-def: $vgpr2_vgpr3
.LBB10_548:
	s_or_saveexec_b32 s4, s4
	v_mov_b32_e32 v9, 1
	s_xor_b32 exec_lo, exec_lo, s4
	s_cbranch_execz .LBB10_552
; %bb.549:
	v_and_b32_e32 v1, 1, v1
	s_mov_b32 s5, exec_lo
	s_delay_alu instid0(VALU_DEP_1)
	v_cmpx_eq_u32_e32 1, v1
	s_cbranch_execz .LBB10_551
; %bb.550:
	s_wait_dscnt 0x0
	v_mov_b64_e32 v[4:5], v[2:3]
	v_mov_b32_e32 v8, 1
.LBB10_551:
	s_or_b32 exec_lo, exec_lo, s5
	s_delay_alu instid0(VALU_DEP_1)
	v_mov_b32_e32 v9, v8
.LBB10_552:
	s_or_b32 exec_lo, exec_lo, s4
	s_wait_dscnt 0x0
	s_delay_alu instid0(VALU_DEP_3) | instskip(NEXT) | instid1(VALU_DEP_2)
	v_mov_b64_e32 v[2:3], v[4:5]
	v_and_b32_e32 v1, 0xff, v9
	v_dual_mov_b32 v9, v4 :: v_dual_mov_b32 v10, v5
.LBB10_553:
	s_or_b32 exec_lo, exec_lo, s3
	v_cmp_gt_u32_e32 vcc_lo, 28, v6
	v_add_nc_u32_e32 v11, 4, v6
	s_mov_b32 s3, exec_lo
	s_wait_dscnt 0x1
	v_cndmask_b32_e64 v4, 0, 4, vcc_lo
	s_wait_dscnt 0x0
	s_delay_alu instid0(VALU_DEP_1)
	v_add_lshl_u32 v5, v4, v6, 2
	ds_bpermute_b32 v8, v5, v1
	ds_bpermute_b32 v4, v5, v9
	;; [unrolled: 1-line block ×3, first 2 shown]
	v_cmpx_lt_u32_e64 v11, v7
	s_cbranch_execz .LBB10_561
; %bb.554:
	s_wait_dscnt 0x2
	v_and_b32_e32 v9, v1, v8
	s_mov_b32 s4, exec_lo
	s_delay_alu instid0(VALU_DEP_1) | instskip(NEXT) | instid1(VALU_DEP_1)
	v_and_b32_e32 v9, 1, v9
	v_cmpx_eq_u32_e32 1, v9
	s_xor_b32 s4, exec_lo, s4
	s_cbranch_execz .LBB10_556
; %bb.555:
	s_wait_dscnt 0x1
	v_cmp_gt_f32_e32 vcc_lo, v2, v4
                                        ; implicit-def: $vgpr8
                                        ; implicit-def: $vgpr1
	v_cndmask_b32_e32 v4, v2, v4, vcc_lo
	s_wait_dscnt 0x0
	v_cmp_lt_f32_e32 vcc_lo, v3, v5
	v_cndmask_b32_e32 v5, v3, v5, vcc_lo
                                        ; implicit-def: $vgpr2_vgpr3
.LBB10_556:
	s_or_saveexec_b32 s4, s4
	v_mov_b32_e32 v9, 1
	s_xor_b32 exec_lo, exec_lo, s4
	s_cbranch_execz .LBB10_560
; %bb.557:
	v_and_b32_e32 v1, 1, v1
	s_mov_b32 s5, exec_lo
	s_delay_alu instid0(VALU_DEP_1)
	v_cmpx_eq_u32_e32 1, v1
	s_cbranch_execz .LBB10_559
; %bb.558:
	s_wait_dscnt 0x0
	v_mov_b64_e32 v[4:5], v[2:3]
	v_mov_b32_e32 v8, 1
.LBB10_559:
	s_or_b32 exec_lo, exec_lo, s5
	s_delay_alu instid0(VALU_DEP_1)
	v_mov_b32_e32 v9, v8
.LBB10_560:
	s_or_b32 exec_lo, exec_lo, s4
	s_wait_dscnt 0x0
	s_delay_alu instid0(VALU_DEP_3) | instskip(NEXT) | instid1(VALU_DEP_2)
	v_mov_b64_e32 v[2:3], v[4:5]
	v_and_b32_e32 v1, 0xff, v9
	v_dual_mov_b32 v9, v4 :: v_dual_mov_b32 v10, v5
.LBB10_561:
	s_or_b32 exec_lo, exec_lo, s3
	v_cmp_gt_u32_e32 vcc_lo, 24, v6
	v_add_nc_u32_e32 v11, 8, v6
	s_mov_b32 s3, exec_lo
	s_wait_dscnt 0x1
	v_cndmask_b32_e64 v4, 0, 8, vcc_lo
	s_wait_dscnt 0x0
	s_delay_alu instid0(VALU_DEP_1)
	v_add_lshl_u32 v5, v4, v6, 2
	ds_bpermute_b32 v8, v5, v1
	ds_bpermute_b32 v4, v5, v9
	ds_bpermute_b32 v5, v5, v10
	v_cmpx_lt_u32_e64 v11, v7
	s_cbranch_execz .LBB10_569
; %bb.562:
	s_wait_dscnt 0x2
	v_and_b32_e32 v9, v1, v8
	s_mov_b32 s4, exec_lo
	s_delay_alu instid0(VALU_DEP_1) | instskip(NEXT) | instid1(VALU_DEP_1)
	v_and_b32_e32 v9, 1, v9
	v_cmpx_eq_u32_e32 1, v9
	s_xor_b32 s4, exec_lo, s4
	s_cbranch_execz .LBB10_564
; %bb.563:
	s_wait_dscnt 0x0
	v_cmp_gt_f32_e32 vcc_lo, v5, v3
                                        ; implicit-def: $vgpr8
                                        ; implicit-def: $vgpr1
	v_cndmask_b32_e32 v5, v3, v5, vcc_lo
	v_cmp_gt_f32_e32 vcc_lo, v2, v4
	v_cndmask_b32_e32 v4, v2, v4, vcc_lo
                                        ; implicit-def: $vgpr2_vgpr3
.LBB10_564:
	s_or_saveexec_b32 s4, s4
	v_mov_b32_e32 v9, 1
	s_xor_b32 exec_lo, exec_lo, s4
	s_cbranch_execz .LBB10_568
; %bb.565:
	v_and_b32_e32 v1, 1, v1
	s_mov_b32 s5, exec_lo
	s_delay_alu instid0(VALU_DEP_1)
	v_cmpx_eq_u32_e32 1, v1
	s_cbranch_execz .LBB10_567
; %bb.566:
	s_wait_dscnt 0x0
	v_mov_b64_e32 v[4:5], v[2:3]
	v_mov_b32_e32 v8, 1
.LBB10_567:
	s_or_b32 exec_lo, exec_lo, s5
	s_delay_alu instid0(VALU_DEP_1)
	v_mov_b32_e32 v9, v8
.LBB10_568:
	s_or_b32 exec_lo, exec_lo, s4
	s_wait_dscnt 0x0
	s_delay_alu instid0(VALU_DEP_3) | instskip(NEXT) | instid1(VALU_DEP_2)
	v_mov_b64_e32 v[2:3], v[4:5]
	v_and_b32_e32 v1, 0xff, v9
	v_dual_mov_b32 v9, v4 :: v_dual_mov_b32 v10, v5
.LBB10_569:
	s_or_b32 exec_lo, exec_lo, s3
	s_wait_dscnt 0x2
	v_lshlrev_b32_e32 v8, 2, v6
	s_wait_dscnt 0x0
	s_delay_alu instid0(VALU_DEP_1) | instskip(SKIP_2) | instid1(VALU_DEP_1)
	v_or_b32_e32 v5, 64, v8
	ds_bpermute_b32 v4, v5, v9
	v_add_nc_u32_e32 v9, 16, v6
	v_cmp_lt_u32_e32 vcc_lo, v9, v7
	v_mov_b32_e32 v7, v1
	ds_bpermute_b32 v11, v5, v1
	ds_bpermute_b32 v5, v5, v10
	s_and_saveexec_b32 s3, vcc_lo
	s_cbranch_execz .LBB10_577
; %bb.570:
	s_wait_dscnt 0x1
	v_and_b32_e32 v7, v1, v11
	s_mov_b32 s4, exec_lo
	s_delay_alu instid0(VALU_DEP_1) | instskip(NEXT) | instid1(VALU_DEP_1)
	v_and_b32_e32 v7, 1, v7
	v_cmpx_eq_u32_e32 1, v7
	s_xor_b32 s4, exec_lo, s4
	s_cbranch_execz .LBB10_572
; %bb.571:
	s_wait_dscnt 0x0
	v_cmp_gt_f32_e32 vcc_lo, v5, v3
                                        ; implicit-def: $vgpr11
                                        ; implicit-def: $vgpr1
	v_cndmask_b32_e32 v5, v3, v5, vcc_lo
	v_cmp_gt_f32_e32 vcc_lo, v2, v4
	v_cndmask_b32_e32 v4, v2, v4, vcc_lo
                                        ; implicit-def: $vgpr2_vgpr3
.LBB10_572:
	s_or_saveexec_b32 s4, s4
	v_mov_b32_e32 v7, 1
	s_xor_b32 exec_lo, exec_lo, s4
	s_cbranch_execz .LBB10_576
; %bb.573:
	v_and_b32_e32 v1, 1, v1
	s_mov_b32 s5, exec_lo
	s_delay_alu instid0(VALU_DEP_1)
	v_cmpx_eq_u32_e32 1, v1
	s_cbranch_execz .LBB10_575
; %bb.574:
	s_wait_dscnt 0x0
	v_mov_b64_e32 v[4:5], v[2:3]
	v_mov_b32_e32 v11, 1
.LBB10_575:
	s_or_b32 exec_lo, exec_lo, s5
	s_delay_alu instid0(VALU_DEP_1)
	v_mov_b32_e32 v7, v11
.LBB10_576:
	s_or_b32 exec_lo, exec_lo, s4
	s_wait_dscnt 0x0
	s_delay_alu instid0(VALU_DEP_3) | instskip(NEXT) | instid1(VALU_DEP_2)
	v_mov_b64_e32 v[2:3], v[4:5]
	v_and_b32_e32 v1, 0xff, v7
.LBB10_577:
	s_or_b32 exec_lo, exec_lo, s3
	s_delay_alu instid0(SALU_CYCLE_1)
	s_mov_b32 s3, exec_lo
	v_cmpx_eq_u32_e32 0, v6
	s_cbranch_execz .LBB10_579
; %bb.578:
	s_wait_dscnt 0x2
	v_lshrrev_b32_e32 v4, 5, v0
	s_delay_alu instid0(VALU_DEP_1)
	v_mul_u32_u24_e32 v4, 12, v4
	ds_store_b8 v4, v7
	ds_store_2addr_b32 v4, v2, v3 offset0:1 offset1:2
.LBB10_579:
	s_or_b32 exec_lo, exec_lo, s3
	s_delay_alu instid0(SALU_CYCLE_1)
	s_mov_b32 s3, exec_lo
	s_wait_dscnt 0x0
	s_barrier_signal -1
	s_barrier_wait -1
	v_cmpx_gt_u32_e32 4, v0
	s_cbranch_execz .LBB10_597
; %bb.580:
	v_mul_u32_u24_e32 v1, 12, v6
	v_and_b32_e32 v7, 3, v6
	s_add_co_i32 s2, s2, 31
	ds_load_u8 v9, v1
	ds_load_2addr_b32 v[2:3], v1 offset0:1 offset1:2
	v_cmp_ne_u32_e32 vcc_lo, 3, v7
	s_lshr_b32 s2, s2, 5
	v_add_co_ci_u32_e64 v1, null, 0, v6, vcc_lo
	s_delay_alu instid0(VALU_DEP_1)
	v_dual_lshlrev_b32 v5, 2, v1 :: v_dual_add_nc_u32 v10, 1, v7
	s_wait_dscnt 0x1
	v_and_b32_e32 v1, 0xff, v9
	s_wait_dscnt 0x0
	ds_bpermute_b32 v4, v5, v2
	v_mov_b32_e32 v11, v3
	v_cmp_gt_u32_e32 vcc_lo, s2, v10
	v_mov_b32_e32 v10, v2
	ds_bpermute_b32 v6, v5, v1
	ds_bpermute_b32 v5, v5, v3
	s_and_saveexec_b32 s4, vcc_lo
	s_cbranch_execz .LBB10_588
; %bb.581:
	s_wait_dscnt 0x1
	v_and_b32_e32 v1, v1, v6
	s_mov_b32 s5, exec_lo
	s_delay_alu instid0(VALU_DEP_1) | instskip(NEXT) | instid1(VALU_DEP_1)
	v_and_b32_e32 v1, 1, v1
	v_cmpx_eq_u32_e32 1, v1
	s_xor_b32 s5, exec_lo, s5
	s_cbranch_execz .LBB10_583
; %bb.582:
	s_wait_dscnt 0x0
	v_cmp_gt_f32_e32 vcc_lo, v5, v3
                                        ; implicit-def: $vgpr6
                                        ; implicit-def: $vgpr9
	v_cndmask_b32_e32 v5, v3, v5, vcc_lo
	v_cmp_gt_f32_e32 vcc_lo, v2, v4
	v_cndmask_b32_e32 v4, v2, v4, vcc_lo
                                        ; implicit-def: $vgpr2_vgpr3
.LBB10_583:
	s_or_saveexec_b32 s5, s5
	v_mov_b32_e32 v1, 1
	s_xor_b32 exec_lo, exec_lo, s5
	s_cbranch_execz .LBB10_587
; %bb.584:
	v_and_b32_e32 v1, 1, v9
	s_mov_b32 s6, exec_lo
	s_delay_alu instid0(VALU_DEP_1)
	v_cmpx_eq_u32_e32 1, v1
	s_cbranch_execz .LBB10_586
; %bb.585:
	s_wait_dscnt 0x0
	v_mov_b64_e32 v[4:5], v[2:3]
	v_mov_b32_e32 v6, 1
.LBB10_586:
	s_or_b32 exec_lo, exec_lo, s6
	s_delay_alu instid0(VALU_DEP_1)
	v_mov_b32_e32 v1, v6
.LBB10_587:
	s_or_b32 exec_lo, exec_lo, s5
	s_wait_dscnt 0x0
	s_delay_alu instid0(VALU_DEP_3) | instskip(NEXT) | instid1(VALU_DEP_2)
	v_mov_b64_e32 v[2:3], v[4:5]
	v_and_b32_e32 v1, 0xff, v1
	v_dual_mov_b32 v10, v4 :: v_dual_mov_b32 v11, v5
.LBB10_588:
	s_or_b32 exec_lo, exec_lo, s4
	s_wait_dscnt 0x0
	v_dual_add_nc_u32 v7, 2, v7 :: v_dual_bitop2_b32 v5, 8, v8 bitop3:0x54
	ds_bpermute_b32 v6, v5, v1
	ds_bpermute_b32 v4, v5, v10
	;; [unrolled: 1-line block ×3, first 2 shown]
	v_cmp_gt_u32_e32 vcc_lo, s2, v7
	s_and_saveexec_b32 s2, vcc_lo
	s_cbranch_execz .LBB10_596
; %bb.589:
	s_wait_dscnt 0x2
	v_and_b32_e32 v7, v1, v6
	s_mov_b32 s4, exec_lo
	s_delay_alu instid0(VALU_DEP_1) | instskip(NEXT) | instid1(VALU_DEP_1)
	v_and_b32_e32 v7, 1, v7
	v_cmpx_eq_u32_e32 1, v7
	s_xor_b32 s4, exec_lo, s4
	s_cbranch_execz .LBB10_591
; %bb.590:
	s_wait_dscnt 0x0
	v_cmp_gt_f32_e32 vcc_lo, v5, v3
                                        ; implicit-def: $vgpr6
                                        ; implicit-def: $vgpr1
	v_cndmask_b32_e32 v5, v3, v5, vcc_lo
	v_cmp_gt_f32_e32 vcc_lo, v2, v4
	v_cndmask_b32_e32 v4, v2, v4, vcc_lo
                                        ; implicit-def: $vgpr2_vgpr3
.LBB10_591:
	s_or_saveexec_b32 s4, s4
	v_mov_b32_e32 v7, 1
	s_xor_b32 exec_lo, exec_lo, s4
	s_cbranch_execz .LBB10_595
; %bb.592:
	v_and_b32_e32 v1, 1, v1
	s_mov_b32 s5, exec_lo
	s_delay_alu instid0(VALU_DEP_1)
	v_cmpx_eq_u32_e32 1, v1
	s_cbranch_execz .LBB10_594
; %bb.593:
	s_wait_dscnt 0x0
	v_mov_b64_e32 v[4:5], v[2:3]
	v_mov_b32_e32 v6, 1
.LBB10_594:
	s_or_b32 exec_lo, exec_lo, s5
	s_delay_alu instid0(VALU_DEP_1)
	v_mov_b32_e32 v7, v6
.LBB10_595:
	s_or_b32 exec_lo, exec_lo, s4
	s_wait_dscnt 0x0
	s_delay_alu instid0(VALU_DEP_3) | instskip(NEXT) | instid1(VALU_DEP_2)
	v_mov_b64_e32 v[2:3], v[4:5]
	v_mov_b32_e32 v1, v7
.LBB10_596:
	s_or_b32 exec_lo, exec_lo, s2
.LBB10_597:
	s_delay_alu instid0(SALU_CYCLE_1)
	s_or_b32 exec_lo, exec_lo, s3
.LBB10_598:
	s_delay_alu instid0(SALU_CYCLE_1)
	s_mov_b32 s2, exec_lo
                                        ; implicit-def: $vgpr4_vgpr5
                                        ; implicit-def: $vgpr7
	v_cmpx_eq_u32_e32 0, v0
	s_xor_b32 s2, exec_lo, s2
	s_cbranch_execz .LBB10_606
; %bb.599:
	s_wait_dscnt 0x0
	v_mov_b64_e32 v[4:5], s[18:19]
	v_mov_b32_e32 v7, s17
	s_cmp_eq_u64 s[22:23], 0
	s_cbranch_scc1 .LBB10_605
; %bb.600:
	v_and_b32_e32 v4, 1, v1
	s_bitcmp1_b32 s17, 0
                                        ; implicit-def: $vgpr7
	s_cselect_b32 s4, -1, 0
	s_delay_alu instid0(VALU_DEP_1) | instskip(SKIP_1) | instid1(SALU_CYCLE_1)
	v_cmp_eq_u32_e32 vcc_lo, 1, v4
                                        ; implicit-def: $vgpr4_vgpr5
	s_and_b32 s3, s4, vcc_lo
	s_xor_b32 s3, s3, -1
	s_delay_alu instid0(SALU_CYCLE_1) | instskip(NEXT) | instid1(SALU_CYCLE_1)
	s_and_saveexec_b32 s5, s3
	s_xor_b32 s3, exec_lo, s5
; %bb.601:
	v_cndmask_b32_e64 v7, v1, 1, s4
	v_cndmask_b32_e64 v5, v3, s19, s4
	;; [unrolled: 1-line block ×3, first 2 shown]
                                        ; implicit-def: $vgpr2_vgpr3
; %bb.602:
	s_and_not1_saveexec_b32 s3, s3
; %bb.603:
	v_cmp_lt_f32_e32 vcc_lo, s19, v3
	v_dual_mov_b32 v7, 1 :: v_dual_cndmask_b32 v5, s19, v3, vcc_lo
	v_cmp_gt_f32_e32 vcc_lo, s18, v2
	v_cndmask_b32_e32 v4, s18, v2, vcc_lo
; %bb.604:
	s_or_b32 exec_lo, exec_lo, s3
.LBB10_605:
	s_delay_alu instid0(SALU_CYCLE_1)
	s_or_b32 s9, s9, exec_lo
.LBB10_606:
	s_or_b32 exec_lo, exec_lo, s2
	s_branch .LBB10_675
.LBB10_607:
	s_cmp_eq_u32 s26, 4
	s_cbranch_scc0 .LBB10_674
; %bb.608:
	s_bfe_u32 s2, ttmp6, 0x4000c
	s_and_b32 s3, ttmp6, 15
	s_add_co_i32 s2, s2, 1
	s_getreg_b32 s4, hwreg(HW_REG_IB_STS2, 6, 4)
	s_mul_i32 s2, ttmp9, s2
	s_mov_b32 s25, 0
	s_add_co_i32 s3, s3, s2
	s_cmp_eq_u32 s4, 0
	s_mov_b32 s5, s25
	s_cselect_b32 s24, ttmp9, s3
	s_delay_alu instid0(SALU_CYCLE_1) | instskip(NEXT) | instid1(SALU_CYCLE_1)
	s_lshl_b32 s4, s24, 9
	s_mul_u64 s[2:3], s[4:5], 12
	s_delay_alu instid0(SALU_CYCLE_1) | instskip(SKIP_3) | instid1(SALU_CYCLE_1)
	s_add_nc_u64 s[2:3], s[20:21], s[2:3]
	s_wait_dscnt 0x0
	v_mad_nc_u64_u32 v[4:5], v0, 12, s[2:3]
	s_lshr_b64 s[2:3], s[22:23], 9
	s_cmp_lg_u64 s[2:3], s[24:25]
	s_cbranch_scc0 .LBB10_676
; %bb.609:
	s_clause 0x7
	global_load_u8 v14, v[4:5], off
	global_load_u8 v13, v[4:5], off offset:1536
	global_load_b64 v[10:11], v[4:5], off offset:1540
	global_load_b64 v[2:3], v[4:5], off offset:4
	global_load_u8 v12, v[4:5], off offset:3072
	global_load_u8 v1, v[4:5], off offset:4608
	global_load_b64 v[6:7], v[4:5], off offset:4612
	global_load_b64 v[8:9], v[4:5], off offset:3076
	s_mov_b32 s2, exec_lo
	s_wait_loadcnt 0x6
	v_and_b32_e32 v15, v13, v14
	s_delay_alu instid0(VALU_DEP_1) | instskip(SKIP_1) | instid1(VALU_DEP_1)
	v_and_b32_e32 v15, 1, v15
	s_wait_xcnt 0x0
	v_cmpx_eq_u32_e32 1, v15
	s_xor_b32 s2, exec_lo, s2
	s_cbranch_execz .LBB10_611
; %bb.610:
	s_wait_loadcnt 0x4
	v_cmp_lt_f32_e32 vcc_lo, v3, v11
                                        ; implicit-def: $vgpr14
                                        ; implicit-def: $vgpr13
	v_cndmask_b32_e32 v3, v3, v11, vcc_lo
	v_cmp_lt_f32_e32 vcc_lo, v10, v2
	v_cndmask_b32_e32 v2, v2, v10, vcc_lo
                                        ; implicit-def: $vgpr10_vgpr11
.LBB10_611:
	s_or_saveexec_b32 s2, s2
	s_mov_b32 s5, -1
	s_xor_b32 exec_lo, exec_lo, s2
	s_cbranch_execz .LBB10_615
; %bb.612:
	v_and_b32_e32 v14, 1, v14
	s_mov_b32 s3, -1
	s_delay_alu instid0(VALU_DEP_1) | instskip(SKIP_1) | instid1(SALU_CYCLE_1)
	v_cmp_eq_u32_e32 vcc_lo, 1, v14
	s_xor_b32 s6, vcc_lo, -1
	s_and_saveexec_b32 s5, s6
	s_cbranch_execz .LBB10_614
; %bb.613:
	s_wait_loadcnt 0x4
	v_and_b32_e32 v2, 1, v13
	s_delay_alu instid0(VALU_DEP_1)
	v_cmp_eq_u32_e32 vcc_lo, 1, v2
	v_mov_b64_e32 v[2:3], v[10:11]
	s_or_not1_b32 s3, vcc_lo, exec_lo
.LBB10_614:
	s_or_b32 exec_lo, exec_lo, s5
	s_delay_alu instid0(SALU_CYCLE_1)
	s_or_not1_b32 s5, s3, exec_lo
.LBB10_615:
	s_or_b32 exec_lo, exec_lo, s2
	s_wait_loadcnt 0x3
	v_and_b32_e32 v10, 1, v12
	s_delay_alu instid0(VALU_DEP_1) | instskip(SKIP_1) | instid1(SALU_CYCLE_1)
	v_cmp_eq_u32_e32 vcc_lo, 1, v10
	s_and_b32 s2, s5, vcc_lo
	s_xor_b32 s3, s2, -1
                                        ; implicit-def: $sgpr2
	s_delay_alu instid0(SALU_CYCLE_1) | instskip(NEXT) | instid1(SALU_CYCLE_1)
	s_and_saveexec_b32 s6, s3
	s_xor_b32 s3, exec_lo, s6
	s_cbranch_execz .LBB10_619
; %bb.616:
	s_xor_b32 s6, s5, -1
	s_mov_b32 s2, -1
	s_and_saveexec_b32 s5, s6
	s_cbranch_execz .LBB10_618
; %bb.617:
	s_wait_loadcnt 0x0
	v_mov_b64_e32 v[2:3], v[8:9]
	s_or_not1_b32 s2, vcc_lo, exec_lo
.LBB10_618:
	s_or_b32 exec_lo, exec_lo, s5
                                        ; implicit-def: $vgpr8_vgpr9
.LBB10_619:
	s_and_not1_saveexec_b32 s3, s3
	s_cbranch_execz .LBB10_621
; %bb.620:
	s_wait_loadcnt 0x0
	s_delay_alu instid0(VALU_DEP_1)
	v_cmp_lt_f32_e32 vcc_lo, v3, v9
	s_or_b32 s2, s2, exec_lo
	v_cndmask_b32_e32 v3, v3, v9, vcc_lo
	v_cmp_lt_f32_e32 vcc_lo, v8, v2
	v_cndmask_b32_e32 v2, v2, v8, vcc_lo
.LBB10_621:
	s_or_b32 exec_lo, exec_lo, s3
	s_wait_loadcnt 0x0
	v_and_b32_e32 v8, 1, v1
	s_delay_alu instid0(VALU_DEP_1) | instskip(SKIP_1) | instid1(SALU_CYCLE_1)
	v_cmp_eq_u32_e32 vcc_lo, 1, v8
                                        ; implicit-def: $vgpr8
	s_and_b32 s3, s2, vcc_lo
	s_xor_b32 s3, s3, -1
	s_delay_alu instid0(SALU_CYCLE_1) | instskip(NEXT) | instid1(SALU_CYCLE_1)
	s_and_saveexec_b32 s5, s3
	s_xor_b32 s3, exec_lo, s5
	s_cbranch_execz .LBB10_625
; %bb.622:
	v_mov_b32_e32 v8, 1
	s_xor_b32 s5, s2, -1
	s_delay_alu instid0(SALU_CYCLE_1)
	s_and_saveexec_b32 s2, s5
; %bb.623:
	v_mov_b64_e32 v[2:3], v[6:7]
	v_mov_b32_e32 v8, v1
; %bb.624:
	s_or_b32 exec_lo, exec_lo, s2
                                        ; implicit-def: $vgpr6_vgpr7
.LBB10_625:
	s_and_not1_saveexec_b32 s2, s3
; %bb.626:
	s_delay_alu instid0(VALU_DEP_2) | instskip(SKIP_1) | instid1(VALU_DEP_4)
	v_cmp_lt_f32_e32 vcc_lo, v3, v7
	v_dual_mov_b32 v8, 1 :: v_dual_cndmask_b32 v3, v3, v7
	v_cmp_lt_f32_e32 vcc_lo, v6, v2
	v_cndmask_b32_e32 v2, v2, v6, vcc_lo
; %bb.627:
	s_or_b32 exec_lo, exec_lo, s2
	s_delay_alu instid0(VALU_DEP_3) | instskip(SKIP_2) | instid1(VALU_DEP_3)
	v_and_b32_e32 v9, 0xff, v8
	v_and_b32_e32 v6, 1, v8
	v_mov_b32_dpp v7, v3 quad_perm:[1,0,3,2] row_mask:0xf bank_mask:0xf
	v_mov_b32_dpp v1, v9 quad_perm:[1,0,3,2] row_mask:0xf bank_mask:0xf
	s_delay_alu instid0(VALU_DEP_3) | instskip(SKIP_1) | instid1(VALU_DEP_3)
	v_cmp_eq_u32_e64 s2, 1, v6
	v_mov_b32_dpp v6, v2 quad_perm:[1,0,3,2] row_mask:0xf bank_mask:0xf
	v_and_b32_e32 v1, 1, v1
	s_delay_alu instid0(VALU_DEP_1) | instskip(SKIP_1) | instid1(SALU_CYCLE_1)
	v_cmp_eq_u32_e32 vcc_lo, 1, v1
                                        ; implicit-def: $vgpr1
	s_and_b32 s2, vcc_lo, s2
	s_xor_b32 s2, s2, -1
	s_delay_alu instid0(SALU_CYCLE_1) | instskip(NEXT) | instid1(SALU_CYCLE_1)
	s_and_saveexec_b32 s3, s2
	s_xor_b32 s2, exec_lo, s3
	s_cbranch_execz .LBB10_631
; %bb.628:
	v_mov_b32_e32 v1, 1
	s_xor_b32 s5, vcc_lo, -1
	s_delay_alu instid0(SALU_CYCLE_1)
	s_and_saveexec_b32 s3, s5
; %bb.629:
	v_mov_b64_e32 v[6:7], v[2:3]
	v_mov_b32_e32 v1, v9
; %bb.630:
	s_or_b32 exec_lo, exec_lo, s3
                                        ; implicit-def: $vgpr2_vgpr3
.LBB10_631:
	s_and_not1_saveexec_b32 s2, s2
; %bb.632:
	s_delay_alu instid0(VALU_DEP_2) | instskip(SKIP_1) | instid1(VALU_DEP_4)
	v_cmp_lt_f32_e32 vcc_lo, v7, v3
	v_dual_mov_b32 v1, 1 :: v_dual_cndmask_b32 v7, v7, v3, vcc_lo
	v_cmp_lt_f32_e32 vcc_lo, v2, v6
	v_cndmask_b32_e32 v6, v6, v2, vcc_lo
; %bb.633:
	s_or_b32 exec_lo, exec_lo, s2
	s_delay_alu instid0(VALU_DEP_3) | instskip(NEXT) | instid1(VALU_DEP_1)
	v_mov_b32_dpp v2, v1 quad_perm:[2,3,0,1] row_mask:0xf bank_mask:0xf
	v_and_b32_e32 v3, v2, v1
	v_and_b32_e32 v8, 1, v2
	v_mov_b32_dpp v2, v6 quad_perm:[2,3,0,1] row_mask:0xf bank_mask:0xf
	s_delay_alu instid0(VALU_DEP_3) | instskip(SKIP_1) | instid1(VALU_DEP_4)
	v_and_b32_e32 v9, 1, v3
	v_mov_b32_dpp v3, v7 quad_perm:[2,3,0,1] row_mask:0xf bank_mask:0xf
	v_cmp_ne_u32_e32 vcc_lo, 1, v8
                                        ; implicit-def: $vgpr8
	s_delay_alu instid0(VALU_DEP_3) | instskip(SKIP_1) | instid1(SALU_CYCLE_1)
	v_cmp_ne_u32_e64 s2, 1, v9
	s_and_saveexec_b32 s3, s2
	s_xor_b32 s2, exec_lo, s3
	s_cbranch_execz .LBB10_637
; %bb.634:
	v_mov_b32_e32 v8, 1
	s_and_saveexec_b32 s3, vcc_lo
; %bb.635:
	v_mov_b64_e32 v[2:3], v[6:7]
	v_mov_b32_e32 v8, v1
; %bb.636:
	s_or_b32 exec_lo, exec_lo, s3
                                        ; implicit-def: $vgpr6_vgpr7
.LBB10_637:
	s_and_not1_saveexec_b32 s2, s2
; %bb.638:
	s_delay_alu instid0(VALU_DEP_2) | instskip(SKIP_1) | instid1(VALU_DEP_4)
	v_cmp_lt_f32_e32 vcc_lo, v3, v7
	v_dual_mov_b32 v8, 1 :: v_dual_cndmask_b32 v3, v3, v7
	v_cmp_lt_f32_e32 vcc_lo, v6, v2
	v_cndmask_b32_e32 v2, v2, v6, vcc_lo
; %bb.639:
	s_or_b32 exec_lo, exec_lo, s2
	s_delay_alu instid0(VALU_DEP_3) | instskip(SKIP_1) | instid1(VALU_DEP_2)
	v_mov_b32_dpp v1, v8 row_ror:4 row_mask:0xf bank_mask:0xf
	v_mov_b32_dpp v7, v3 row_ror:4 row_mask:0xf bank_mask:0xf
	v_and_b32_e32 v6, v1, v8
	v_and_b32_e32 v1, 1, v1
	s_delay_alu instid0(VALU_DEP_2) | instskip(SKIP_1) | instid1(VALU_DEP_3)
	v_and_b32_e32 v9, 1, v6
	v_mov_b32_dpp v6, v2 row_ror:4 row_mask:0xf bank_mask:0xf
	v_cmp_ne_u32_e32 vcc_lo, 1, v1
                                        ; implicit-def: $vgpr1
	s_delay_alu instid0(VALU_DEP_3) | instskip(SKIP_1) | instid1(SALU_CYCLE_1)
	v_cmp_ne_u32_e64 s2, 1, v9
	s_and_saveexec_b32 s3, s2
	s_xor_b32 s2, exec_lo, s3
	s_cbranch_execz .LBB10_643
; %bb.640:
	v_mov_b32_e32 v1, 1
	s_and_saveexec_b32 s3, vcc_lo
; %bb.641:
	v_mov_b64_e32 v[6:7], v[2:3]
	v_mov_b32_e32 v1, v8
; %bb.642:
	s_or_b32 exec_lo, exec_lo, s3
                                        ; implicit-def: $vgpr2_vgpr3
.LBB10_643:
	s_and_not1_saveexec_b32 s2, s2
; %bb.644:
	s_delay_alu instid0(VALU_DEP_2) | instskip(SKIP_1) | instid1(VALU_DEP_4)
	v_cmp_lt_f32_e32 vcc_lo, v7, v3
	v_dual_mov_b32 v1, 1 :: v_dual_cndmask_b32 v7, v7, v3, vcc_lo
	v_cmp_lt_f32_e32 vcc_lo, v2, v6
	v_cndmask_b32_e32 v6, v6, v2, vcc_lo
; %bb.645:
	s_or_b32 exec_lo, exec_lo, s2
	s_delay_alu instid0(VALU_DEP_3) | instskip(NEXT) | instid1(VALU_DEP_1)
	v_mov_b32_dpp v2, v1 row_ror:8 row_mask:0xf bank_mask:0xf
	v_and_b32_e32 v3, v2, v1
	v_and_b32_e32 v8, 1, v2
	v_mov_b32_dpp v2, v6 row_ror:8 row_mask:0xf bank_mask:0xf
	s_delay_alu instid0(VALU_DEP_3) | instskip(SKIP_1) | instid1(VALU_DEP_4)
	v_and_b32_e32 v9, 1, v3
	v_mov_b32_dpp v3, v7 row_ror:8 row_mask:0xf bank_mask:0xf
	v_cmp_ne_u32_e32 vcc_lo, 1, v8
                                        ; implicit-def: $vgpr8
	s_delay_alu instid0(VALU_DEP_3) | instskip(SKIP_1) | instid1(SALU_CYCLE_1)
	v_cmp_ne_u32_e64 s2, 1, v9
	s_and_saveexec_b32 s3, s2
	s_xor_b32 s2, exec_lo, s3
	s_cbranch_execz .LBB10_649
; %bb.646:
	v_mov_b32_e32 v8, 1
	s_and_saveexec_b32 s3, vcc_lo
; %bb.647:
	v_mov_b64_e32 v[2:3], v[6:7]
	v_mov_b32_e32 v8, v1
; %bb.648:
	s_or_b32 exec_lo, exec_lo, s3
                                        ; implicit-def: $vgpr6_vgpr7
.LBB10_649:
	s_and_not1_saveexec_b32 s2, s2
; %bb.650:
	s_delay_alu instid0(VALU_DEP_2) | instskip(SKIP_1) | instid1(VALU_DEP_4)
	v_cmp_lt_f32_e32 vcc_lo, v3, v7
	v_dual_mov_b32 v8, 1 :: v_dual_cndmask_b32 v3, v3, v7
	v_cmp_lt_f32_e32 vcc_lo, v6, v2
	v_cndmask_b32_e32 v2, v2, v6, vcc_lo
; %bb.651:
	s_or_b32 exec_lo, exec_lo, s2
	ds_swizzle_b32 v1, v8 offset:swizzle(BROADCAST,32,15)
	ds_swizzle_b32 v6, v2 offset:swizzle(BROADCAST,32,15)
	;; [unrolled: 1-line block ×3, first 2 shown]
	s_wait_dscnt 0x2
	v_and_b32_e32 v9, v1, v8
	v_and_b32_e32 v1, 1, v1
	s_delay_alu instid0(VALU_DEP_2) | instskip(NEXT) | instid1(VALU_DEP_2)
	v_and_b32_e32 v9, 1, v9
	v_cmp_ne_u32_e32 vcc_lo, 1, v1
                                        ; implicit-def: $vgpr1
	s_delay_alu instid0(VALU_DEP_2) | instskip(SKIP_1) | instid1(SALU_CYCLE_1)
	v_cmp_ne_u32_e64 s2, 1, v9
	s_and_saveexec_b32 s3, s2
	s_xor_b32 s2, exec_lo, s3
	s_cbranch_execz .LBB10_655
; %bb.652:
	v_mov_b32_e32 v1, 1
	s_and_saveexec_b32 s3, vcc_lo
	s_cbranch_execz .LBB10_654
; %bb.653:
	s_wait_dscnt 0x0
	v_mov_b64_e32 v[6:7], v[2:3]
	v_mov_b32_e32 v1, v8
.LBB10_654:
	s_or_b32 exec_lo, exec_lo, s3
                                        ; implicit-def: $vgpr2_vgpr3
.LBB10_655:
	s_and_not1_saveexec_b32 s2, s2
	s_cbranch_execz .LBB10_657
; %bb.656:
	s_wait_dscnt 0x0
	s_delay_alu instid0(VALU_DEP_2)
	v_cmp_lt_f32_e32 vcc_lo, v7, v3
	v_dual_mov_b32 v1, 1 :: v_dual_cndmask_b32 v7, v7, v3, vcc_lo
	v_cmp_lt_f32_e32 vcc_lo, v2, v6
	v_cndmask_b32_e32 v6, v6, v2, vcc_lo
.LBB10_657:
	s_or_b32 exec_lo, exec_lo, s2
	v_mov_b32_e32 v3, 0
	v_mbcnt_lo_u32_b32 v8, -1, 0
	s_mov_b32 s2, exec_lo
	ds_bpermute_b32 v1, v3, v1 offset:124
	s_wait_dscnt 0x2
	ds_bpermute_b32 v2, v3, v6 offset:124
	s_wait_dscnt 0x2
	ds_bpermute_b32 v3, v3, v7 offset:124
	v_cmpx_eq_u32_e32 0, v8
	s_cbranch_execz .LBB10_659
; %bb.658:
	v_lshrrev_b32_e32 v6, 5, v0
	s_delay_alu instid0(VALU_DEP_1)
	v_mul_u32_u24_e32 v6, 12, v6
	s_wait_dscnt 0x2
	ds_store_b8 v6, v1 offset:192
	s_wait_dscnt 0x1
	ds_store_2addr_b32 v6, v2, v3 offset0:49 offset1:50
.LBB10_659:
	s_or_b32 exec_lo, exec_lo, s2
	s_delay_alu instid0(SALU_CYCLE_1)
	s_mov_b32 s2, exec_lo
	s_wait_dscnt 0x0
	s_barrier_signal -1
	s_barrier_wait -1
	v_cmpx_gt_u32_e32 32, v0
	s_cbranch_execz .LBB10_673
; %bb.660:
	v_and_b32_e32 v1, 3, v8
	s_mov_b32 s3, exec_lo
	s_delay_alu instid0(VALU_DEP_1)
	v_mul_u32_u24_e32 v2, 12, v1
	v_cmp_ne_u32_e32 vcc_lo, 3, v1
	ds_load_u8 v10, v2 offset:192
	v_add_co_ci_u32_e64 v1, null, 0, v8, vcc_lo
	ds_load_2addr_b32 v[2:3], v2 offset0:49 offset1:50
	v_lshlrev_b32_e32 v7, 2, v1
	s_wait_dscnt 0x1
	v_and_b32_e32 v6, 0xff, v10
	ds_bpermute_b32 v1, v7, v6
	s_wait_dscnt 0x0
	v_and_b32_e32 v9, v10, v1
	ds_bpermute_b32 v6, v7, v2
	ds_bpermute_b32 v7, v7, v3
	v_and_b32_e32 v9, 1, v9
	s_delay_alu instid0(VALU_DEP_1)
	v_cmpx_eq_u32_e32 1, v9
	s_xor_b32 s3, exec_lo, s3
	s_cbranch_execz .LBB10_662
; %bb.661:
	s_wait_dscnt 0x0
	v_cmp_gt_f32_e32 vcc_lo, v7, v3
                                        ; implicit-def: $vgpr1
                                        ; implicit-def: $vgpr10
	v_cndmask_b32_e32 v7, v3, v7, vcc_lo
	v_cmp_gt_f32_e32 vcc_lo, v2, v6
	v_cndmask_b32_e32 v6, v2, v6, vcc_lo
                                        ; implicit-def: $vgpr2_vgpr3
.LBB10_662:
	s_or_saveexec_b32 s3, s3
	v_dual_mov_b32 v9, 1 :: v_dual_lshlrev_b32 v8, 2, v8
	s_xor_b32 exec_lo, exec_lo, s3
	s_cbranch_execz .LBB10_666
; %bb.663:
	v_and_b32_e32 v9, 1, v10
	s_mov_b32 s5, exec_lo
	s_delay_alu instid0(VALU_DEP_1)
	v_cmpx_eq_u32_e32 1, v9
	s_cbranch_execz .LBB10_665
; %bb.664:
	s_wait_dscnt 0x0
	v_mov_b64_e32 v[6:7], v[2:3]
	v_mov_b32_e32 v1, 1
.LBB10_665:
	s_or_b32 exec_lo, exec_lo, s5
	s_delay_alu instid0(VALU_DEP_1)
	v_mov_b32_e32 v9, v1
.LBB10_666:
	s_or_b32 exec_lo, exec_lo, s3
	s_delay_alu instid0(VALU_DEP_1)
	v_and_b32_e32 v1, 0xff, v9
	v_or_b32_e32 v3, 8, v8
	s_mov_b32 s3, exec_lo
	ds_bpermute_b32 v8, v3, v1
	s_wait_dscnt 0x2
	ds_bpermute_b32 v2, v3, v6
	s_wait_dscnt 0x2
	;; [unrolled: 2-line block ×3, first 2 shown]
	v_and_b32_e32 v1, v9, v8
	s_delay_alu instid0(VALU_DEP_1) | instskip(NEXT) | instid1(VALU_DEP_1)
	v_and_b32_e32 v1, 1, v1
	v_cmpx_eq_u32_e32 1, v1
	s_xor_b32 s3, exec_lo, s3
	s_cbranch_execz .LBB10_668
; %bb.667:
	s_wait_dscnt 0x0
	v_cmp_gt_f32_e32 vcc_lo, v3, v7
                                        ; implicit-def: $vgpr8
                                        ; implicit-def: $vgpr9
	v_cndmask_b32_e32 v3, v7, v3, vcc_lo
	v_cmp_gt_f32_e32 vcc_lo, v6, v2
	v_cndmask_b32_e32 v2, v6, v2, vcc_lo
                                        ; implicit-def: $vgpr6_vgpr7
.LBB10_668:
	s_or_saveexec_b32 s3, s3
	v_mov_b32_e32 v1, 1
	s_xor_b32 exec_lo, exec_lo, s3
	s_cbranch_execz .LBB10_672
; %bb.669:
	v_and_b32_e32 v1, 1, v9
	s_mov_b32 s5, exec_lo
	s_delay_alu instid0(VALU_DEP_1)
	v_cmpx_eq_u32_e32 1, v1
	s_cbranch_execz .LBB10_671
; %bb.670:
	s_wait_dscnt 0x0
	v_mov_b64_e32 v[2:3], v[6:7]
	v_mov_b32_e32 v8, 1
.LBB10_671:
	s_or_b32 exec_lo, exec_lo, s5
	s_delay_alu instid0(VALU_DEP_1)
	v_mov_b32_e32 v1, v8
.LBB10_672:
	s_or_b32 exec_lo, exec_lo, s3
.LBB10_673:
	s_delay_alu instid0(SALU_CYCLE_1)
	s_or_b32 exec_lo, exec_lo, s2
	s_branch .LBB10_770
.LBB10_674:
                                        ; implicit-def: $vgpr4_vgpr5
                                        ; implicit-def: $vgpr7
                                        ; implicit-def: $sgpr24_sgpr25
.LBB10_675:
	s_branch .LBB10_970
.LBB10_676:
                                        ; implicit-def: $vgpr2_vgpr3
                                        ; implicit-def: $vgpr1
	s_cbranch_execz .LBB10_770
; %bb.677:
	v_mov_b64_e32 v[10:11], 0
	s_wait_dscnt 0x0
	v_mov_b64_e32 v[2:3], 0
	v_dual_mov_b32 v14, 0 :: v_dual_mov_b32 v1, 0
	s_sub_co_i32 s5, s22, s4
	s_mov_b32 s2, exec_lo
	v_cmpx_gt_u32_e64 s5, v0
	s_cbranch_execz .LBB10_679
; %bb.678:
	s_clause 0x1
	global_load_u8 v1, v[4:5], off
	global_load_b64 v[2:3], v[4:5], off offset:4
.LBB10_679:
	s_wait_xcnt 0x0
	s_or_b32 exec_lo, exec_lo, s2
	v_or_b32_e32 v6, 0x80, v0
	s_delay_alu instid0(VALU_DEP_1)
	v_cmp_gt_u32_e64 s3, s5, v6
	s_and_saveexec_b32 s2, s3
	s_cbranch_execz .LBB10_681
; %bb.680:
	s_clause 0x1
	global_load_u8 v14, v[4:5], off offset:1536
	global_load_b64 v[10:11], v[4:5], off offset:1540
.LBB10_681:
	s_wait_xcnt 0x0
	s_or_b32 exec_lo, exec_lo, s2
	v_or_b32_e32 v13, 0x100, v0
	v_mov_b64_e32 v[6:7], 0
	v_mov_b64_e32 v[8:9], 0
	v_mov_b32_e32 v12, 0
	s_delay_alu instid0(VALU_DEP_4)
	v_cmp_gt_u32_e64 s2, s5, v13
	v_mov_b32_e32 v13, 0
	s_and_saveexec_b32 s4, s2
	s_cbranch_execz .LBB10_683
; %bb.682:
	s_clause 0x1
	global_load_u8 v13, v[4:5], off offset:3072
	global_load_b64 v[8:9], v[4:5], off offset:3076
.LBB10_683:
	s_wait_xcnt 0x0
	s_or_b32 exec_lo, exec_lo, s4
	v_or_b32_e32 v15, 0x180, v0
	s_delay_alu instid0(VALU_DEP_1)
	v_cmp_gt_u32_e32 vcc_lo, s5, v15
	s_and_saveexec_b32 s4, vcc_lo
	s_cbranch_execnz .LBB10_687
; %bb.684:
	s_or_b32 exec_lo, exec_lo, s4
	s_and_saveexec_b32 s6, s3
	s_cbranch_execnz .LBB10_688
.LBB10_685:
	s_or_b32 exec_lo, exec_lo, s6
	s_and_saveexec_b32 s4, s2
	s_cbranch_execnz .LBB10_695
.LBB10_686:
	s_or_b32 exec_lo, exec_lo, s4
	s_and_saveexec_b32 s3, vcc_lo
	s_cbranch_execnz .LBB10_702
	s_branch .LBB10_709
.LBB10_687:
	s_clause 0x1
	global_load_u8 v12, v[4:5], off offset:4608
	global_load_b64 v[6:7], v[4:5], off offset:4612
	s_wait_xcnt 0x0
	s_or_b32 exec_lo, exec_lo, s4
	s_and_saveexec_b32 s6, s3
	s_cbranch_execz .LBB10_685
.LBB10_688:
	s_wait_loadcnt 0x1
	v_and_b32_e32 v1, 1, v1
	v_and_b32_e32 v4, 1, v14
	s_delay_alu instid0(VALU_DEP_2) | instskip(NEXT) | instid1(VALU_DEP_2)
	v_cmp_eq_u32_e64 s3, 1, v1
	v_cmp_eq_u32_e64 s4, 1, v4
                                        ; implicit-def: $vgpr1
	s_and_b32 s4, s3, s4
	s_delay_alu instid0(SALU_CYCLE_1) | instskip(NEXT) | instid1(SALU_CYCLE_1)
	s_xor_b32 s4, s4, -1
	s_and_saveexec_b32 s7, s4
	s_delay_alu instid0(SALU_CYCLE_1)
	s_xor_b32 s4, exec_lo, s7
	s_cbranch_execz .LBB10_692
; %bb.689:
	v_mov_b32_e32 v1, 1
	s_xor_b32 s7, s3, -1
	s_delay_alu instid0(SALU_CYCLE_1)
	s_and_saveexec_b32 s3, s7
	s_cbranch_execz .LBB10_691
; %bb.690:
	s_wait_loadcnt 0x0
	v_mov_b64_e32 v[2:3], v[10:11]
	v_and_b32_e32 v1, 0xff, v14
.LBB10_691:
	s_or_b32 exec_lo, exec_lo, s3
                                        ; implicit-def: $vgpr10_vgpr11
.LBB10_692:
	s_and_not1_saveexec_b32 s4, s4
	s_cbranch_execz .LBB10_694
; %bb.693:
	s_wait_loadcnt 0x0
	s_delay_alu instid0(VALU_DEP_2) | instskip(NEXT) | instid1(VALU_DEP_1)
	v_cmp_lt_f32_e64 s3, v3, v11
	v_dual_mov_b32 v1, 1 :: v_dual_cndmask_b32 v3, v3, v11, s3
	v_cmp_lt_f32_e64 s3, v10, v2
	s_delay_alu instid0(VALU_DEP_1)
	v_cndmask_b32_e64 v2, v2, v10, s3
.LBB10_694:
	s_or_b32 exec_lo, exec_lo, s4
	s_delay_alu instid0(SALU_CYCLE_1)
	s_or_b32 exec_lo, exec_lo, s6
	s_and_saveexec_b32 s4, s2
	s_cbranch_execz .LBB10_686
.LBB10_695:
	s_wait_loadcnt 0x1
	v_and_b32_e32 v1, 1, v1
	v_and_b32_e32 v4, 1, v13
	s_delay_alu instid0(VALU_DEP_2) | instskip(NEXT) | instid1(VALU_DEP_2)
	v_cmp_eq_u32_e64 s2, 1, v1
	v_cmp_eq_u32_e64 s3, 1, v4
                                        ; implicit-def: $vgpr1
	s_and_b32 s3, s2, s3
	s_delay_alu instid0(SALU_CYCLE_1) | instskip(NEXT) | instid1(SALU_CYCLE_1)
	s_xor_b32 s3, s3, -1
	s_and_saveexec_b32 s6, s3
	s_delay_alu instid0(SALU_CYCLE_1)
	s_xor_b32 s3, exec_lo, s6
	s_cbranch_execz .LBB10_699
; %bb.696:
	v_mov_b32_e32 v1, 1
	s_xor_b32 s6, s2, -1
	s_delay_alu instid0(SALU_CYCLE_1)
	s_and_saveexec_b32 s2, s6
	s_cbranch_execz .LBB10_698
; %bb.697:
	s_wait_loadcnt 0x0
	v_mov_b64_e32 v[2:3], v[8:9]
	v_and_b32_e32 v1, 0xff, v13
.LBB10_698:
	s_or_b32 exec_lo, exec_lo, s2
                                        ; implicit-def: $vgpr8_vgpr9
.LBB10_699:
	s_and_not1_saveexec_b32 s3, s3
	s_cbranch_execz .LBB10_701
; %bb.700:
	s_wait_loadcnt 0x0
	s_delay_alu instid0(VALU_DEP_2) | instskip(NEXT) | instid1(VALU_DEP_1)
	v_cmp_lt_f32_e64 s2, v3, v9
	v_dual_mov_b32 v1, 1 :: v_dual_cndmask_b32 v3, v3, v9, s2
	v_cmp_lt_f32_e64 s2, v8, v2
	s_delay_alu instid0(VALU_DEP_1)
	v_cndmask_b32_e64 v2, v2, v8, s2
.LBB10_701:
	s_or_b32 exec_lo, exec_lo, s3
	s_delay_alu instid0(SALU_CYCLE_1)
	s_or_b32 exec_lo, exec_lo, s4
	s_and_saveexec_b32 s3, vcc_lo
	s_cbranch_execz .LBB10_709
.LBB10_702:
	s_wait_loadcnt 0x1
	v_and_b32_e32 v1, 1, v1
	v_and_b32_e32 v4, 1, v12
	s_delay_alu instid0(VALU_DEP_2) | instskip(NEXT) | instid1(VALU_DEP_2)
	v_cmp_eq_u32_e32 vcc_lo, 1, v1
	v_cmp_eq_u32_e64 s2, 1, v4
                                        ; implicit-def: $vgpr1
	s_and_b32 s2, vcc_lo, s2
	s_delay_alu instid0(SALU_CYCLE_1) | instskip(NEXT) | instid1(SALU_CYCLE_1)
	s_xor_b32 s2, s2, -1
	s_and_saveexec_b32 s4, s2
	s_delay_alu instid0(SALU_CYCLE_1)
	s_xor_b32 s2, exec_lo, s4
	s_cbranch_execz .LBB10_706
; %bb.703:
	v_mov_b32_e32 v1, 1
	s_xor_b32 s6, vcc_lo, -1
	s_delay_alu instid0(SALU_CYCLE_1)
	s_and_saveexec_b32 s4, s6
	s_cbranch_execz .LBB10_705
; %bb.704:
	s_wait_loadcnt 0x0
	v_mov_b64_e32 v[2:3], v[6:7]
	v_and_b32_e32 v1, 0xff, v12
.LBB10_705:
	s_or_b32 exec_lo, exec_lo, s4
                                        ; implicit-def: $vgpr6_vgpr7
.LBB10_706:
	s_and_not1_saveexec_b32 s2, s2
	s_cbranch_execz .LBB10_708
; %bb.707:
	s_wait_loadcnt 0x0
	s_delay_alu instid0(VALU_DEP_2)
	v_cmp_lt_f32_e32 vcc_lo, v3, v7
	v_dual_mov_b32 v1, 1 :: v_dual_cndmask_b32 v3, v3, v7, vcc_lo
	v_cmp_lt_f32_e32 vcc_lo, v6, v2
	v_cndmask_b32_e32 v2, v2, v6, vcc_lo
.LBB10_708:
	s_or_b32 exec_lo, exec_lo, s2
.LBB10_709:
	s_delay_alu instid0(SALU_CYCLE_1)
	s_or_b32 exec_lo, exec_lo, s3
	s_wait_loadcnt 0x0
	v_mbcnt_lo_u32_b32 v6, -1, 0
	v_and_b32_e32 v7, 0x60, v0
	s_min_u32 s2, s5, 0x80
	v_mov_b32_e32 v10, v3
	s_delay_alu instid0(VALU_DEP_3) | instskip(SKIP_3) | instid1(VALU_DEP_2)
	v_cmp_ne_u32_e32 vcc_lo, 31, v6
	v_add_nc_u32_e32 v9, 1, v6
	v_sub_nc_u32_e64 v7, s2, v7 clamp
	v_add_co_ci_u32_e64 v4, null, 0, v6, vcc_lo
	v_cmp_lt_u32_e32 vcc_lo, v9, v7
	s_delay_alu instid0(VALU_DEP_2) | instskip(SKIP_4) | instid1(SALU_CYCLE_1)
	v_dual_mov_b32 v9, v2 :: v_dual_lshlrev_b32 v5, 2, v4
	ds_bpermute_b32 v8, v5, v1
	ds_bpermute_b32 v4, v5, v2
	;; [unrolled: 1-line block ×3, first 2 shown]
	s_and_saveexec_b32 s3, vcc_lo
	s_xor_b32 s3, exec_lo, s3
	s_cbranch_execz .LBB10_717
; %bb.710:
	s_wait_dscnt 0x2
	v_and_b32_e32 v9, v8, v1
	s_mov_b32 s4, exec_lo
	s_delay_alu instid0(VALU_DEP_1)
	v_cmpx_ne_u32_e32 0, v9
	s_xor_b32 s4, exec_lo, s4
	s_cbranch_execz .LBB10_712
; %bb.711:
	s_wait_dscnt 0x0
	v_cmp_lt_f32_e32 vcc_lo, v3, v5
                                        ; implicit-def: $vgpr8
                                        ; implicit-def: $vgpr1
	v_cndmask_b32_e32 v5, v3, v5, vcc_lo
	v_cmp_lt_f32_e32 vcc_lo, v4, v2
	v_cndmask_b32_e32 v4, v2, v4, vcc_lo
                                        ; implicit-def: $vgpr2_vgpr3
.LBB10_712:
	s_or_saveexec_b32 s4, s4
	v_mov_b32_e32 v9, 1
	s_xor_b32 exec_lo, exec_lo, s4
	s_cbranch_execz .LBB10_716
; %bb.713:
	v_and_b32_e32 v1, 1, v1
	s_mov_b32 s5, exec_lo
	s_delay_alu instid0(VALU_DEP_1)
	v_cmpx_eq_u32_e32 1, v1
	s_cbranch_execz .LBB10_715
; %bb.714:
	s_wait_dscnt 0x0
	v_mov_b64_e32 v[4:5], v[2:3]
	v_mov_b32_e32 v8, 1
.LBB10_715:
	s_or_b32 exec_lo, exec_lo, s5
	s_delay_alu instid0(VALU_DEP_1)
	v_mov_b32_e32 v9, v8
.LBB10_716:
	s_or_b32 exec_lo, exec_lo, s4
	s_wait_dscnt 0x0
	s_delay_alu instid0(VALU_DEP_3) | instskip(NEXT) | instid1(VALU_DEP_2)
	v_mov_b64_e32 v[2:3], v[4:5]
	v_and_b32_e32 v1, 0xff, v9
	v_dual_mov_b32 v9, v4 :: v_dual_mov_b32 v10, v5
.LBB10_717:
	s_or_b32 exec_lo, exec_lo, s3
	v_cmp_gt_u32_e32 vcc_lo, 30, v6
	v_add_nc_u32_e32 v11, 2, v6
	s_mov_b32 s3, exec_lo
	s_wait_dscnt 0x1
	v_cndmask_b32_e64 v4, 0, 2, vcc_lo
	s_wait_dscnt 0x0
	s_delay_alu instid0(VALU_DEP_1)
	v_add_lshl_u32 v5, v4, v6, 2
	ds_bpermute_b32 v8, v5, v1
	ds_bpermute_b32 v4, v5, v9
	;; [unrolled: 1-line block ×3, first 2 shown]
	v_cmpx_lt_u32_e64 v11, v7
	s_cbranch_execz .LBB10_725
; %bb.718:
	s_wait_dscnt 0x2
	v_and_b32_e32 v9, v1, v8
	s_mov_b32 s4, exec_lo
	s_delay_alu instid0(VALU_DEP_1) | instskip(NEXT) | instid1(VALU_DEP_1)
	v_and_b32_e32 v9, 1, v9
	v_cmpx_eq_u32_e32 1, v9
	s_xor_b32 s4, exec_lo, s4
	s_cbranch_execz .LBB10_720
; %bb.719:
	s_wait_dscnt 0x0
	v_cmp_lt_f32_e32 vcc_lo, v3, v5
                                        ; implicit-def: $vgpr8
                                        ; implicit-def: $vgpr1
	v_cndmask_b32_e32 v5, v3, v5, vcc_lo
	v_cmp_lt_f32_e32 vcc_lo, v4, v2
	v_cndmask_b32_e32 v4, v2, v4, vcc_lo
                                        ; implicit-def: $vgpr2_vgpr3
.LBB10_720:
	s_or_saveexec_b32 s4, s4
	v_mov_b32_e32 v9, 1
	s_xor_b32 exec_lo, exec_lo, s4
	s_cbranch_execz .LBB10_724
; %bb.721:
	v_and_b32_e32 v1, 1, v1
	s_mov_b32 s5, exec_lo
	s_delay_alu instid0(VALU_DEP_1)
	v_cmpx_eq_u32_e32 1, v1
	s_cbranch_execz .LBB10_723
; %bb.722:
	s_wait_dscnt 0x0
	v_mov_b64_e32 v[4:5], v[2:3]
	v_mov_b32_e32 v8, 1
.LBB10_723:
	s_or_b32 exec_lo, exec_lo, s5
	s_delay_alu instid0(VALU_DEP_1)
	v_mov_b32_e32 v9, v8
.LBB10_724:
	s_or_b32 exec_lo, exec_lo, s4
	s_wait_dscnt 0x0
	s_delay_alu instid0(VALU_DEP_3) | instskip(NEXT) | instid1(VALU_DEP_2)
	v_mov_b64_e32 v[2:3], v[4:5]
	v_and_b32_e32 v1, 0xff, v9
	v_dual_mov_b32 v9, v4 :: v_dual_mov_b32 v10, v5
.LBB10_725:
	s_or_b32 exec_lo, exec_lo, s3
	v_cmp_gt_u32_e32 vcc_lo, 28, v6
	v_add_nc_u32_e32 v11, 4, v6
	s_mov_b32 s3, exec_lo
	s_wait_dscnt 0x1
	v_cndmask_b32_e64 v4, 0, 4, vcc_lo
	s_wait_dscnt 0x0
	s_delay_alu instid0(VALU_DEP_1)
	v_add_lshl_u32 v5, v4, v6, 2
	ds_bpermute_b32 v8, v5, v1
	ds_bpermute_b32 v4, v5, v9
	;; [unrolled: 1-line block ×3, first 2 shown]
	v_cmpx_lt_u32_e64 v11, v7
	s_cbranch_execz .LBB10_733
; %bb.726:
	s_wait_dscnt 0x2
	v_and_b32_e32 v9, v1, v8
	s_mov_b32 s4, exec_lo
	s_delay_alu instid0(VALU_DEP_1) | instskip(NEXT) | instid1(VALU_DEP_1)
	v_and_b32_e32 v9, 1, v9
	v_cmpx_eq_u32_e32 1, v9
	s_xor_b32 s4, exec_lo, s4
	s_cbranch_execz .LBB10_728
; %bb.727:
	s_wait_dscnt 0x1
	v_cmp_gt_f32_e32 vcc_lo, v2, v4
                                        ; implicit-def: $vgpr8
                                        ; implicit-def: $vgpr1
	v_cndmask_b32_e32 v4, v2, v4, vcc_lo
	s_wait_dscnt 0x0
	v_cmp_lt_f32_e32 vcc_lo, v3, v5
	v_cndmask_b32_e32 v5, v3, v5, vcc_lo
                                        ; implicit-def: $vgpr2_vgpr3
.LBB10_728:
	s_or_saveexec_b32 s4, s4
	v_mov_b32_e32 v9, 1
	s_xor_b32 exec_lo, exec_lo, s4
	s_cbranch_execz .LBB10_732
; %bb.729:
	v_and_b32_e32 v1, 1, v1
	s_mov_b32 s5, exec_lo
	s_delay_alu instid0(VALU_DEP_1)
	v_cmpx_eq_u32_e32 1, v1
	s_cbranch_execz .LBB10_731
; %bb.730:
	s_wait_dscnt 0x0
	v_mov_b64_e32 v[4:5], v[2:3]
	v_mov_b32_e32 v8, 1
.LBB10_731:
	s_or_b32 exec_lo, exec_lo, s5
	s_delay_alu instid0(VALU_DEP_1)
	v_mov_b32_e32 v9, v8
.LBB10_732:
	s_or_b32 exec_lo, exec_lo, s4
	s_wait_dscnt 0x0
	s_delay_alu instid0(VALU_DEP_3) | instskip(NEXT) | instid1(VALU_DEP_2)
	v_mov_b64_e32 v[2:3], v[4:5]
	v_and_b32_e32 v1, 0xff, v9
	v_dual_mov_b32 v9, v4 :: v_dual_mov_b32 v10, v5
.LBB10_733:
	s_or_b32 exec_lo, exec_lo, s3
	v_cmp_gt_u32_e32 vcc_lo, 24, v6
	v_add_nc_u32_e32 v11, 8, v6
	s_mov_b32 s3, exec_lo
	s_wait_dscnt 0x1
	v_cndmask_b32_e64 v4, 0, 8, vcc_lo
	s_wait_dscnt 0x0
	s_delay_alu instid0(VALU_DEP_1)
	v_add_lshl_u32 v5, v4, v6, 2
	ds_bpermute_b32 v8, v5, v1
	ds_bpermute_b32 v4, v5, v9
	;; [unrolled: 1-line block ×3, first 2 shown]
	v_cmpx_lt_u32_e64 v11, v7
	s_cbranch_execz .LBB10_741
; %bb.734:
	s_wait_dscnt 0x2
	v_and_b32_e32 v9, v1, v8
	s_mov_b32 s4, exec_lo
	s_delay_alu instid0(VALU_DEP_1) | instskip(NEXT) | instid1(VALU_DEP_1)
	v_and_b32_e32 v9, 1, v9
	v_cmpx_eq_u32_e32 1, v9
	s_xor_b32 s4, exec_lo, s4
	s_cbranch_execz .LBB10_736
; %bb.735:
	s_wait_dscnt 0x0
	v_cmp_gt_f32_e32 vcc_lo, v5, v3
                                        ; implicit-def: $vgpr8
                                        ; implicit-def: $vgpr1
	v_cndmask_b32_e32 v5, v3, v5, vcc_lo
	v_cmp_gt_f32_e32 vcc_lo, v2, v4
	v_cndmask_b32_e32 v4, v2, v4, vcc_lo
                                        ; implicit-def: $vgpr2_vgpr3
.LBB10_736:
	s_or_saveexec_b32 s4, s4
	v_mov_b32_e32 v9, 1
	s_xor_b32 exec_lo, exec_lo, s4
	s_cbranch_execz .LBB10_740
; %bb.737:
	v_and_b32_e32 v1, 1, v1
	s_mov_b32 s5, exec_lo
	s_delay_alu instid0(VALU_DEP_1)
	v_cmpx_eq_u32_e32 1, v1
	s_cbranch_execz .LBB10_739
; %bb.738:
	s_wait_dscnt 0x0
	v_mov_b64_e32 v[4:5], v[2:3]
	v_mov_b32_e32 v8, 1
.LBB10_739:
	s_or_b32 exec_lo, exec_lo, s5
	s_delay_alu instid0(VALU_DEP_1)
	v_mov_b32_e32 v9, v8
.LBB10_740:
	s_or_b32 exec_lo, exec_lo, s4
	s_wait_dscnt 0x0
	s_delay_alu instid0(VALU_DEP_3) | instskip(NEXT) | instid1(VALU_DEP_2)
	v_mov_b64_e32 v[2:3], v[4:5]
	v_and_b32_e32 v1, 0xff, v9
	v_dual_mov_b32 v9, v4 :: v_dual_mov_b32 v10, v5
.LBB10_741:
	s_or_b32 exec_lo, exec_lo, s3
	s_wait_dscnt 0x2
	v_lshlrev_b32_e32 v8, 2, v6
	s_wait_dscnt 0x0
	s_delay_alu instid0(VALU_DEP_1) | instskip(SKIP_2) | instid1(VALU_DEP_1)
	v_or_b32_e32 v5, 64, v8
	ds_bpermute_b32 v4, v5, v9
	v_add_nc_u32_e32 v9, 16, v6
	v_cmp_lt_u32_e32 vcc_lo, v9, v7
	v_mov_b32_e32 v7, v1
	ds_bpermute_b32 v11, v5, v1
	ds_bpermute_b32 v5, v5, v10
	s_and_saveexec_b32 s3, vcc_lo
	s_cbranch_execz .LBB10_749
; %bb.742:
	s_wait_dscnt 0x1
	v_and_b32_e32 v7, v1, v11
	s_mov_b32 s4, exec_lo
	s_delay_alu instid0(VALU_DEP_1) | instskip(NEXT) | instid1(VALU_DEP_1)
	v_and_b32_e32 v7, 1, v7
	v_cmpx_eq_u32_e32 1, v7
	s_xor_b32 s4, exec_lo, s4
	s_cbranch_execz .LBB10_744
; %bb.743:
	s_wait_dscnt 0x0
	v_cmp_gt_f32_e32 vcc_lo, v5, v3
                                        ; implicit-def: $vgpr11
                                        ; implicit-def: $vgpr1
	v_cndmask_b32_e32 v5, v3, v5, vcc_lo
	v_cmp_gt_f32_e32 vcc_lo, v2, v4
	v_cndmask_b32_e32 v4, v2, v4, vcc_lo
                                        ; implicit-def: $vgpr2_vgpr3
.LBB10_744:
	s_or_saveexec_b32 s4, s4
	v_mov_b32_e32 v7, 1
	s_xor_b32 exec_lo, exec_lo, s4
	s_cbranch_execz .LBB10_748
; %bb.745:
	v_and_b32_e32 v1, 1, v1
	s_mov_b32 s5, exec_lo
	s_delay_alu instid0(VALU_DEP_1)
	v_cmpx_eq_u32_e32 1, v1
	s_cbranch_execz .LBB10_747
; %bb.746:
	s_wait_dscnt 0x0
	v_mov_b64_e32 v[4:5], v[2:3]
	v_mov_b32_e32 v11, 1
.LBB10_747:
	s_or_b32 exec_lo, exec_lo, s5
	s_delay_alu instid0(VALU_DEP_1)
	v_mov_b32_e32 v7, v11
.LBB10_748:
	s_or_b32 exec_lo, exec_lo, s4
	s_wait_dscnt 0x0
	s_delay_alu instid0(VALU_DEP_3) | instskip(NEXT) | instid1(VALU_DEP_2)
	v_mov_b64_e32 v[2:3], v[4:5]
	v_and_b32_e32 v1, 0xff, v7
.LBB10_749:
	s_or_b32 exec_lo, exec_lo, s3
	s_delay_alu instid0(SALU_CYCLE_1)
	s_mov_b32 s3, exec_lo
	v_cmpx_eq_u32_e32 0, v6
	s_cbranch_execz .LBB10_751
; %bb.750:
	s_wait_dscnt 0x2
	v_lshrrev_b32_e32 v4, 5, v0
	s_delay_alu instid0(VALU_DEP_1)
	v_mul_u32_u24_e32 v4, 12, v4
	ds_store_b8 v4, v7
	ds_store_2addr_b32 v4, v2, v3 offset0:1 offset1:2
.LBB10_751:
	s_or_b32 exec_lo, exec_lo, s3
	s_delay_alu instid0(SALU_CYCLE_1)
	s_mov_b32 s3, exec_lo
	s_wait_dscnt 0x0
	s_barrier_signal -1
	s_barrier_wait -1
	v_cmpx_gt_u32_e32 4, v0
	s_cbranch_execz .LBB10_769
; %bb.752:
	v_mul_u32_u24_e32 v1, 12, v6
	v_and_b32_e32 v7, 3, v6
	s_add_co_i32 s2, s2, 31
	ds_load_u8 v9, v1
	ds_load_2addr_b32 v[2:3], v1 offset0:1 offset1:2
	v_cmp_ne_u32_e32 vcc_lo, 3, v7
	s_lshr_b32 s2, s2, 5
	v_add_co_ci_u32_e64 v1, null, 0, v6, vcc_lo
	s_delay_alu instid0(VALU_DEP_1)
	v_dual_lshlrev_b32 v5, 2, v1 :: v_dual_add_nc_u32 v10, 1, v7
	s_wait_dscnt 0x1
	v_and_b32_e32 v1, 0xff, v9
	s_wait_dscnt 0x0
	ds_bpermute_b32 v4, v5, v2
	v_mov_b32_e32 v11, v3
	v_cmp_gt_u32_e32 vcc_lo, s2, v10
	v_mov_b32_e32 v10, v2
	ds_bpermute_b32 v6, v5, v1
	ds_bpermute_b32 v5, v5, v3
	s_and_saveexec_b32 s4, vcc_lo
	s_cbranch_execz .LBB10_760
; %bb.753:
	s_wait_dscnt 0x1
	v_and_b32_e32 v1, v1, v6
	s_mov_b32 s5, exec_lo
	s_delay_alu instid0(VALU_DEP_1) | instskip(NEXT) | instid1(VALU_DEP_1)
	v_and_b32_e32 v1, 1, v1
	v_cmpx_eq_u32_e32 1, v1
	s_xor_b32 s5, exec_lo, s5
	s_cbranch_execz .LBB10_755
; %bb.754:
	s_wait_dscnt 0x0
	v_cmp_gt_f32_e32 vcc_lo, v5, v3
                                        ; implicit-def: $vgpr6
                                        ; implicit-def: $vgpr9
	v_cndmask_b32_e32 v5, v3, v5, vcc_lo
	v_cmp_gt_f32_e32 vcc_lo, v2, v4
	v_cndmask_b32_e32 v4, v2, v4, vcc_lo
                                        ; implicit-def: $vgpr2_vgpr3
.LBB10_755:
	s_or_saveexec_b32 s5, s5
	v_mov_b32_e32 v1, 1
	s_xor_b32 exec_lo, exec_lo, s5
	s_cbranch_execz .LBB10_759
; %bb.756:
	v_and_b32_e32 v1, 1, v9
	s_mov_b32 s6, exec_lo
	s_delay_alu instid0(VALU_DEP_1)
	v_cmpx_eq_u32_e32 1, v1
	s_cbranch_execz .LBB10_758
; %bb.757:
	s_wait_dscnt 0x0
	v_mov_b64_e32 v[4:5], v[2:3]
	v_mov_b32_e32 v6, 1
.LBB10_758:
	s_or_b32 exec_lo, exec_lo, s6
	s_delay_alu instid0(VALU_DEP_1)
	v_mov_b32_e32 v1, v6
.LBB10_759:
	s_or_b32 exec_lo, exec_lo, s5
	s_wait_dscnt 0x0
	s_delay_alu instid0(VALU_DEP_3) | instskip(NEXT) | instid1(VALU_DEP_2)
	v_mov_b64_e32 v[2:3], v[4:5]
	v_and_b32_e32 v1, 0xff, v1
	v_dual_mov_b32 v10, v4 :: v_dual_mov_b32 v11, v5
.LBB10_760:
	s_or_b32 exec_lo, exec_lo, s4
	s_wait_dscnt 0x0
	v_dual_add_nc_u32 v7, 2, v7 :: v_dual_bitop2_b32 v5, 8, v8 bitop3:0x54
	ds_bpermute_b32 v6, v5, v1
	ds_bpermute_b32 v4, v5, v10
	;; [unrolled: 1-line block ×3, first 2 shown]
	v_cmp_gt_u32_e32 vcc_lo, s2, v7
	s_and_saveexec_b32 s2, vcc_lo
	s_cbranch_execz .LBB10_768
; %bb.761:
	s_wait_dscnt 0x2
	v_and_b32_e32 v7, v1, v6
	s_mov_b32 s4, exec_lo
	s_delay_alu instid0(VALU_DEP_1) | instskip(NEXT) | instid1(VALU_DEP_1)
	v_and_b32_e32 v7, 1, v7
	v_cmpx_eq_u32_e32 1, v7
	s_xor_b32 s4, exec_lo, s4
	s_cbranch_execz .LBB10_763
; %bb.762:
	s_wait_dscnt 0x0
	v_cmp_gt_f32_e32 vcc_lo, v5, v3
                                        ; implicit-def: $vgpr6
                                        ; implicit-def: $vgpr1
	v_cndmask_b32_e32 v5, v3, v5, vcc_lo
	v_cmp_gt_f32_e32 vcc_lo, v2, v4
	v_cndmask_b32_e32 v4, v2, v4, vcc_lo
                                        ; implicit-def: $vgpr2_vgpr3
.LBB10_763:
	s_or_saveexec_b32 s4, s4
	v_mov_b32_e32 v7, 1
	s_xor_b32 exec_lo, exec_lo, s4
	s_cbranch_execz .LBB10_767
; %bb.764:
	v_and_b32_e32 v1, 1, v1
	s_mov_b32 s5, exec_lo
	s_delay_alu instid0(VALU_DEP_1)
	v_cmpx_eq_u32_e32 1, v1
	s_cbranch_execz .LBB10_766
; %bb.765:
	s_wait_dscnt 0x0
	v_mov_b64_e32 v[4:5], v[2:3]
	v_mov_b32_e32 v6, 1
.LBB10_766:
	s_or_b32 exec_lo, exec_lo, s5
	s_delay_alu instid0(VALU_DEP_1)
	v_mov_b32_e32 v7, v6
.LBB10_767:
	s_or_b32 exec_lo, exec_lo, s4
	s_wait_dscnt 0x0
	s_delay_alu instid0(VALU_DEP_3) | instskip(NEXT) | instid1(VALU_DEP_2)
	v_mov_b64_e32 v[2:3], v[4:5]
	v_mov_b32_e32 v1, v7
.LBB10_768:
	s_or_b32 exec_lo, exec_lo, s2
.LBB10_769:
	s_delay_alu instid0(SALU_CYCLE_1)
	s_or_b32 exec_lo, exec_lo, s3
.LBB10_770:
	s_delay_alu instid0(SALU_CYCLE_1)
	s_mov_b32 s2, exec_lo
                                        ; implicit-def: $vgpr4_vgpr5
                                        ; implicit-def: $vgpr7
	v_cmpx_eq_u32_e32 0, v0
	s_xor_b32 s2, exec_lo, s2
	s_cbranch_execz .LBB10_778
; %bb.771:
	s_wait_dscnt 0x0
	v_mov_b64_e32 v[4:5], s[18:19]
	v_mov_b32_e32 v7, s17
	s_cmp_eq_u64 s[22:23], 0
	s_cbranch_scc1 .LBB10_777
; %bb.772:
	v_and_b32_e32 v4, 1, v1
	s_bitcmp1_b32 s17, 0
                                        ; implicit-def: $vgpr7
	s_cselect_b32 s4, -1, 0
	s_delay_alu instid0(VALU_DEP_1) | instskip(SKIP_1) | instid1(SALU_CYCLE_1)
	v_cmp_eq_u32_e32 vcc_lo, 1, v4
                                        ; implicit-def: $vgpr4_vgpr5
	s_and_b32 s3, s4, vcc_lo
	s_xor_b32 s3, s3, -1
	s_delay_alu instid0(SALU_CYCLE_1) | instskip(NEXT) | instid1(SALU_CYCLE_1)
	s_and_saveexec_b32 s5, s3
	s_xor_b32 s3, exec_lo, s5
; %bb.773:
	v_cndmask_b32_e64 v7, v1, 1, s4
	v_cndmask_b32_e64 v5, v3, s19, s4
	;; [unrolled: 1-line block ×3, first 2 shown]
                                        ; implicit-def: $vgpr2_vgpr3
; %bb.774:
	s_and_not1_saveexec_b32 s3, s3
; %bb.775:
	v_cmp_lt_f32_e32 vcc_lo, s19, v3
	v_dual_mov_b32 v7, 1 :: v_dual_cndmask_b32 v5, s19, v3, vcc_lo
	v_cmp_gt_f32_e32 vcc_lo, s18, v2
	v_cndmask_b32_e32 v4, s18, v2, vcc_lo
; %bb.776:
	s_or_b32 exec_lo, exec_lo, s3
.LBB10_777:
	s_delay_alu instid0(SALU_CYCLE_1)
	s_or_b32 s9, s9, exec_lo
.LBB10_778:
	s_or_b32 exec_lo, exec_lo, s2
	s_branch .LBB10_970
.LBB10_779:
	s_cmp_gt_i32 s26, 1
	s_cbranch_scc0 .LBB10_835
; %bb.780:
	s_cmp_eq_u32 s26, 2
	s_cbranch_scc0 .LBB10_836
; %bb.781:
	s_bfe_u32 s2, ttmp6, 0x4000c
	s_and_b32 s3, ttmp6, 15
	s_add_co_i32 s2, s2, 1
	s_getreg_b32 s4, hwreg(HW_REG_IB_STS2, 6, 4)
	s_mul_i32 s2, ttmp9, s2
	s_mov_b32 s25, 0
	s_add_co_i32 s3, s3, s2
	s_cmp_eq_u32 s4, 0
	s_mov_b32 s5, s25
	s_cselect_b32 s24, ttmp9, s3
	s_delay_alu instid0(SALU_CYCLE_1) | instskip(NEXT) | instid1(SALU_CYCLE_1)
	s_lshl_b32 s4, s24, 8
	s_mul_u64 s[2:3], s[4:5], 12
	s_delay_alu instid0(SALU_CYCLE_1) | instskip(SKIP_3) | instid1(SALU_CYCLE_1)
	s_add_nc_u64 s[2:3], s[20:21], s[2:3]
	s_wait_dscnt 0x0
	v_mad_nc_u64_u32 v[4:5], v0, 12, s[2:3]
	s_lshr_b64 s[2:3], s[22:23], 8
	s_cmp_lg_u64 s[2:3], s[24:25]
	s_cbranch_scc0 .LBB10_837
; %bb.782:
	s_clause 0x3
	global_load_u8 v8, v[4:5], off
	global_load_u8 v1, v[4:5], off offset:1536
	global_load_b64 v[6:7], v[4:5], off offset:1540
	global_load_b64 v[2:3], v[4:5], off offset:4
	s_mov_b32 s2, exec_lo
	s_wait_loadcnt 0x2
	v_and_b32_e32 v9, v1, v8
	s_delay_alu instid0(VALU_DEP_1) | instskip(SKIP_1) | instid1(VALU_DEP_1)
	v_and_b32_e32 v9, 1, v9
	s_wait_xcnt 0x0
	v_cmpx_eq_u32_e32 1, v9
	s_xor_b32 s2, exec_lo, s2
	s_cbranch_execz .LBB10_784
; %bb.783:
	s_wait_loadcnt 0x0
	v_cmp_lt_f32_e32 vcc_lo, v3, v7
                                        ; implicit-def: $vgpr1
                                        ; implicit-def: $vgpr8
	v_cndmask_b32_e32 v3, v3, v7, vcc_lo
	v_cmp_lt_f32_e32 vcc_lo, v6, v2
	v_cndmask_b32_e32 v2, v2, v6, vcc_lo
                                        ; implicit-def: $vgpr6_vgpr7
.LBB10_784:
	s_or_saveexec_b32 s2, s2
	v_mov_b32_e32 v9, 1
	s_xor_b32 exec_lo, exec_lo, s2
	s_cbranch_execz .LBB10_788
; %bb.785:
	v_dual_mov_b32 v9, 1 :: v_dual_bitop2_b32 v8, 1, v8 bitop3:0x40
	s_delay_alu instid0(VALU_DEP_1) | instskip(SKIP_1) | instid1(SALU_CYCLE_1)
	v_cmp_eq_u32_e32 vcc_lo, 1, v8
	s_xor_b32 s5, vcc_lo, -1
	s_and_saveexec_b32 s3, s5
	s_cbranch_execz .LBB10_787
; %bb.786:
	s_wait_loadcnt 0x0
	v_mov_b64_e32 v[2:3], v[6:7]
	v_mov_b32_e32 v9, v1
.LBB10_787:
	s_or_b32 exec_lo, exec_lo, s3
.LBB10_788:
	s_delay_alu instid0(SALU_CYCLE_1) | instskip(NEXT) | instid1(VALU_DEP_1)
	s_or_b32 exec_lo, exec_lo, s2
	v_and_b32_e32 v8, 0xff, v9
	s_wait_loadcnt 0x1
	v_and_b32_e32 v6, 1, v9
	s_wait_loadcnt 0x0
	v_mov_b32_dpp v7, v3 quad_perm:[1,0,3,2] row_mask:0xf bank_mask:0xf
	v_mov_b32_dpp v1, v8 quad_perm:[1,0,3,2] row_mask:0xf bank_mask:0xf
	s_delay_alu instid0(VALU_DEP_3) | instskip(SKIP_1) | instid1(VALU_DEP_3)
	v_cmp_eq_u32_e64 s2, 1, v6
	v_mov_b32_dpp v6, v2 quad_perm:[1,0,3,2] row_mask:0xf bank_mask:0xf
	v_and_b32_e32 v1, 1, v1
	s_delay_alu instid0(VALU_DEP_1) | instskip(SKIP_1) | instid1(SALU_CYCLE_1)
	v_cmp_eq_u32_e32 vcc_lo, 1, v1
                                        ; implicit-def: $vgpr1
	s_and_b32 s2, vcc_lo, s2
	s_xor_b32 s2, s2, -1
	s_delay_alu instid0(SALU_CYCLE_1) | instskip(NEXT) | instid1(SALU_CYCLE_1)
	s_and_saveexec_b32 s3, s2
	s_xor_b32 s2, exec_lo, s3
	s_cbranch_execz .LBB10_792
; %bb.789:
	v_mov_b32_e32 v1, 1
	s_xor_b32 s5, vcc_lo, -1
	s_delay_alu instid0(SALU_CYCLE_1)
	s_and_saveexec_b32 s3, s5
; %bb.790:
	v_mov_b64_e32 v[6:7], v[2:3]
	v_mov_b32_e32 v1, v8
; %bb.791:
	s_or_b32 exec_lo, exec_lo, s3
                                        ; implicit-def: $vgpr2_vgpr3
.LBB10_792:
	s_and_not1_saveexec_b32 s2, s2
; %bb.793:
	s_delay_alu instid0(VALU_DEP_2) | instskip(SKIP_1) | instid1(VALU_DEP_4)
	v_cmp_lt_f32_e32 vcc_lo, v7, v3
	v_dual_mov_b32 v1, 1 :: v_dual_cndmask_b32 v7, v7, v3, vcc_lo
	v_cmp_lt_f32_e32 vcc_lo, v2, v6
	v_cndmask_b32_e32 v6, v6, v2, vcc_lo
; %bb.794:
	s_or_b32 exec_lo, exec_lo, s2
	s_delay_alu instid0(VALU_DEP_3) | instskip(NEXT) | instid1(VALU_DEP_1)
	v_mov_b32_dpp v2, v1 quad_perm:[2,3,0,1] row_mask:0xf bank_mask:0xf
	v_and_b32_e32 v3, v2, v1
	v_and_b32_e32 v8, 1, v2
	v_mov_b32_dpp v2, v6 quad_perm:[2,3,0,1] row_mask:0xf bank_mask:0xf
	s_delay_alu instid0(VALU_DEP_3) | instskip(SKIP_1) | instid1(VALU_DEP_4)
	v_and_b32_e32 v9, 1, v3
	v_mov_b32_dpp v3, v7 quad_perm:[2,3,0,1] row_mask:0xf bank_mask:0xf
	v_cmp_ne_u32_e32 vcc_lo, 1, v8
                                        ; implicit-def: $vgpr8
	s_delay_alu instid0(VALU_DEP_3) | instskip(SKIP_1) | instid1(SALU_CYCLE_1)
	v_cmp_ne_u32_e64 s2, 1, v9
	s_and_saveexec_b32 s3, s2
	s_xor_b32 s2, exec_lo, s3
	s_cbranch_execz .LBB10_798
; %bb.795:
	v_mov_b32_e32 v8, 1
	s_and_saveexec_b32 s3, vcc_lo
; %bb.796:
	v_mov_b64_e32 v[2:3], v[6:7]
	v_mov_b32_e32 v8, v1
; %bb.797:
	s_or_b32 exec_lo, exec_lo, s3
                                        ; implicit-def: $vgpr6_vgpr7
.LBB10_798:
	s_and_not1_saveexec_b32 s2, s2
; %bb.799:
	s_delay_alu instid0(VALU_DEP_2) | instskip(SKIP_1) | instid1(VALU_DEP_4)
	v_cmp_lt_f32_e32 vcc_lo, v3, v7
	v_dual_mov_b32 v8, 1 :: v_dual_cndmask_b32 v3, v3, v7
	v_cmp_lt_f32_e32 vcc_lo, v6, v2
	v_cndmask_b32_e32 v2, v2, v6, vcc_lo
; %bb.800:
	s_or_b32 exec_lo, exec_lo, s2
	s_delay_alu instid0(VALU_DEP_3) | instskip(SKIP_1) | instid1(VALU_DEP_2)
	v_mov_b32_dpp v1, v8 row_ror:4 row_mask:0xf bank_mask:0xf
	v_mov_b32_dpp v7, v3 row_ror:4 row_mask:0xf bank_mask:0xf
	v_and_b32_e32 v6, v1, v8
	v_and_b32_e32 v1, 1, v1
	s_delay_alu instid0(VALU_DEP_2) | instskip(SKIP_1) | instid1(VALU_DEP_3)
	v_and_b32_e32 v9, 1, v6
	v_mov_b32_dpp v6, v2 row_ror:4 row_mask:0xf bank_mask:0xf
	v_cmp_ne_u32_e32 vcc_lo, 1, v1
                                        ; implicit-def: $vgpr1
	s_delay_alu instid0(VALU_DEP_3) | instskip(SKIP_1) | instid1(SALU_CYCLE_1)
	v_cmp_ne_u32_e64 s2, 1, v9
	s_and_saveexec_b32 s3, s2
	s_xor_b32 s2, exec_lo, s3
	s_cbranch_execz .LBB10_804
; %bb.801:
	v_mov_b32_e32 v1, 1
	s_and_saveexec_b32 s3, vcc_lo
; %bb.802:
	v_mov_b64_e32 v[6:7], v[2:3]
	v_mov_b32_e32 v1, v8
; %bb.803:
	s_or_b32 exec_lo, exec_lo, s3
                                        ; implicit-def: $vgpr2_vgpr3
.LBB10_804:
	s_and_not1_saveexec_b32 s2, s2
; %bb.805:
	s_delay_alu instid0(VALU_DEP_2) | instskip(SKIP_1) | instid1(VALU_DEP_4)
	v_cmp_lt_f32_e32 vcc_lo, v7, v3
	v_dual_mov_b32 v1, 1 :: v_dual_cndmask_b32 v7, v7, v3, vcc_lo
	v_cmp_lt_f32_e32 vcc_lo, v2, v6
	v_cndmask_b32_e32 v6, v6, v2, vcc_lo
; %bb.806:
	s_or_b32 exec_lo, exec_lo, s2
	s_delay_alu instid0(VALU_DEP_3) | instskip(NEXT) | instid1(VALU_DEP_1)
	v_mov_b32_dpp v2, v1 row_ror:8 row_mask:0xf bank_mask:0xf
	v_and_b32_e32 v3, v2, v1
	v_and_b32_e32 v8, 1, v2
	v_mov_b32_dpp v2, v6 row_ror:8 row_mask:0xf bank_mask:0xf
	s_delay_alu instid0(VALU_DEP_3) | instskip(SKIP_1) | instid1(VALU_DEP_4)
	v_and_b32_e32 v9, 1, v3
	v_mov_b32_dpp v3, v7 row_ror:8 row_mask:0xf bank_mask:0xf
	v_cmp_ne_u32_e32 vcc_lo, 1, v8
                                        ; implicit-def: $vgpr8
	s_delay_alu instid0(VALU_DEP_3) | instskip(SKIP_1) | instid1(SALU_CYCLE_1)
	v_cmp_ne_u32_e64 s2, 1, v9
	s_and_saveexec_b32 s3, s2
	s_xor_b32 s2, exec_lo, s3
	s_cbranch_execz .LBB10_810
; %bb.807:
	v_mov_b32_e32 v8, 1
	s_and_saveexec_b32 s3, vcc_lo
; %bb.808:
	v_mov_b64_e32 v[2:3], v[6:7]
	v_mov_b32_e32 v8, v1
; %bb.809:
	s_or_b32 exec_lo, exec_lo, s3
                                        ; implicit-def: $vgpr6_vgpr7
.LBB10_810:
	s_and_not1_saveexec_b32 s2, s2
; %bb.811:
	s_delay_alu instid0(VALU_DEP_2) | instskip(SKIP_1) | instid1(VALU_DEP_4)
	v_cmp_lt_f32_e32 vcc_lo, v3, v7
	v_dual_mov_b32 v8, 1 :: v_dual_cndmask_b32 v3, v3, v7
	v_cmp_lt_f32_e32 vcc_lo, v6, v2
	v_cndmask_b32_e32 v2, v2, v6, vcc_lo
; %bb.812:
	s_or_b32 exec_lo, exec_lo, s2
	ds_swizzle_b32 v1, v8 offset:swizzle(BROADCAST,32,15)
	ds_swizzle_b32 v6, v2 offset:swizzle(BROADCAST,32,15)
	;; [unrolled: 1-line block ×3, first 2 shown]
	s_wait_dscnt 0x2
	v_and_b32_e32 v9, v1, v8
	v_and_b32_e32 v1, 1, v1
	s_delay_alu instid0(VALU_DEP_2) | instskip(NEXT) | instid1(VALU_DEP_2)
	v_and_b32_e32 v9, 1, v9
	v_cmp_ne_u32_e32 vcc_lo, 1, v1
                                        ; implicit-def: $vgpr1
	s_delay_alu instid0(VALU_DEP_2) | instskip(SKIP_1) | instid1(SALU_CYCLE_1)
	v_cmp_ne_u32_e64 s2, 1, v9
	s_and_saveexec_b32 s3, s2
	s_xor_b32 s2, exec_lo, s3
	s_cbranch_execz .LBB10_816
; %bb.813:
	v_mov_b32_e32 v1, 1
	s_and_saveexec_b32 s3, vcc_lo
	s_cbranch_execz .LBB10_815
; %bb.814:
	s_wait_dscnt 0x0
	v_mov_b64_e32 v[6:7], v[2:3]
	v_mov_b32_e32 v1, v8
.LBB10_815:
	s_or_b32 exec_lo, exec_lo, s3
                                        ; implicit-def: $vgpr2_vgpr3
.LBB10_816:
	s_and_not1_saveexec_b32 s2, s2
	s_cbranch_execz .LBB10_818
; %bb.817:
	s_wait_dscnt 0x0
	s_delay_alu instid0(VALU_DEP_2)
	v_cmp_lt_f32_e32 vcc_lo, v7, v3
	v_dual_mov_b32 v1, 1 :: v_dual_cndmask_b32 v7, v7, v3, vcc_lo
	v_cmp_lt_f32_e32 vcc_lo, v2, v6
	v_cndmask_b32_e32 v6, v6, v2, vcc_lo
.LBB10_818:
	s_or_b32 exec_lo, exec_lo, s2
	v_mov_b32_e32 v3, 0
	s_mov_b32 s2, exec_lo
	ds_bpermute_b32 v8, v3, v1 offset:124
	s_wait_dscnt 0x2
	ds_bpermute_b32 v2, v3, v6 offset:124
	s_wait_dscnt 0x2
	ds_bpermute_b32 v3, v3, v7 offset:124
	v_mbcnt_lo_u32_b32 v1, -1, 0
	s_delay_alu instid0(VALU_DEP_1)
	v_cmpx_eq_u32_e32 0, v1
	s_cbranch_execz .LBB10_820
; %bb.819:
	v_lshrrev_b32_e32 v6, 5, v0
	s_delay_alu instid0(VALU_DEP_1)
	v_mul_u32_u24_e32 v6, 12, v6
	s_wait_dscnt 0x2
	ds_store_b8 v6, v8 offset:144
	s_wait_dscnt 0x1
	ds_store_2addr_b32 v6, v2, v3 offset0:37 offset1:38
.LBB10_820:
	s_or_b32 exec_lo, exec_lo, s2
	s_delay_alu instid0(SALU_CYCLE_1)
	s_mov_b32 s2, exec_lo
	s_wait_dscnt 0x0
	s_barrier_signal -1
	s_barrier_wait -1
	v_cmpx_gt_u32_e32 32, v0
	s_cbranch_execz .LBB10_834
; %bb.821:
	v_and_b32_e32 v2, 3, v1
	s_mov_b32 s3, exec_lo
	s_delay_alu instid0(VALU_DEP_1) | instskip(SKIP_1) | instid1(VALU_DEP_1)
	v_cmp_ne_u32_e32 vcc_lo, 3, v2
	v_add_co_ci_u32_e64 v6, null, 0, v1, vcc_lo
	v_lshlrev_b32_e32 v9, 2, v6
	v_mul_u32_u24_e32 v3, 12, v2
	ds_load_u8 v10, v3 offset:144
	ds_load_2addr_b32 v[2:3], v3 offset0:37 offset1:38
	s_wait_dscnt 0x1
	v_and_b32_e32 v7, 0xff, v10
	s_wait_dscnt 0x0
	ds_bpermute_b32 v6, v9, v2
	ds_bpermute_b32 v8, v9, v7
	;; [unrolled: 1-line block ×3, first 2 shown]
	s_wait_dscnt 0x1
	v_and_b32_e32 v9, v10, v8
	s_delay_alu instid0(VALU_DEP_1) | instskip(NEXT) | instid1(VALU_DEP_1)
	v_and_b32_e32 v9, 1, v9
	v_cmpx_eq_u32_e32 1, v9
	s_xor_b32 s3, exec_lo, s3
	s_cbranch_execz .LBB10_823
; %bb.822:
	s_wait_dscnt 0x0
	v_cmp_gt_f32_e32 vcc_lo, v7, v3
                                        ; implicit-def: $vgpr8
                                        ; implicit-def: $vgpr10
	v_cndmask_b32_e32 v7, v3, v7, vcc_lo
	v_cmp_gt_f32_e32 vcc_lo, v2, v6
	v_cndmask_b32_e32 v6, v2, v6, vcc_lo
                                        ; implicit-def: $vgpr2_vgpr3
.LBB10_823:
	s_or_saveexec_b32 s3, s3
	v_dual_lshlrev_b32 v1, 2, v1 :: v_dual_mov_b32 v9, 1
	s_xor_b32 exec_lo, exec_lo, s3
	s_cbranch_execz .LBB10_827
; %bb.824:
	v_and_b32_e32 v9, 1, v10
	s_mov_b32 s5, exec_lo
	s_delay_alu instid0(VALU_DEP_1)
	v_cmpx_eq_u32_e32 1, v9
	s_cbranch_execz .LBB10_826
; %bb.825:
	s_wait_dscnt 0x0
	v_mov_b64_e32 v[6:7], v[2:3]
	v_mov_b32_e32 v8, 1
.LBB10_826:
	s_or_b32 exec_lo, exec_lo, s5
	s_delay_alu instid0(VALU_DEP_1)
	v_mov_b32_e32 v9, v8
.LBB10_827:
	s_or_b32 exec_lo, exec_lo, s3
	s_delay_alu instid0(VALU_DEP_1)
	v_and_b32_e32 v2, 0xff, v9
	v_or_b32_e32 v3, 8, v1
	s_mov_b32 s3, exec_lo
	ds_bpermute_b32 v1, v3, v2
	ds_bpermute_b32 v2, v3, v6
	s_wait_dscnt 0x2
	ds_bpermute_b32 v3, v3, v7
	s_wait_dscnt 0x2
	v_and_b32_e32 v8, v9, v1
	s_delay_alu instid0(VALU_DEP_1) | instskip(NEXT) | instid1(VALU_DEP_1)
	v_and_b32_e32 v8, 1, v8
	v_cmpx_eq_u32_e32 1, v8
	s_xor_b32 s3, exec_lo, s3
	s_cbranch_execz .LBB10_829
; %bb.828:
	s_wait_dscnt 0x0
	v_cmp_gt_f32_e32 vcc_lo, v3, v7
                                        ; implicit-def: $vgpr1
                                        ; implicit-def: $vgpr9
	v_cndmask_b32_e32 v3, v7, v3, vcc_lo
	v_cmp_gt_f32_e32 vcc_lo, v6, v2
	v_cndmask_b32_e32 v2, v6, v2, vcc_lo
                                        ; implicit-def: $vgpr6_vgpr7
.LBB10_829:
	s_or_saveexec_b32 s3, s3
	v_mov_b32_e32 v8, 1
	s_xor_b32 exec_lo, exec_lo, s3
	s_cbranch_execz .LBB10_833
; %bb.830:
	v_and_b32_e32 v8, 1, v9
	s_mov_b32 s5, exec_lo
	s_delay_alu instid0(VALU_DEP_1)
	v_cmpx_eq_u32_e32 1, v8
	s_cbranch_execz .LBB10_832
; %bb.831:
	s_wait_dscnt 0x0
	v_mov_b64_e32 v[2:3], v[6:7]
	v_mov_b32_e32 v1, 1
.LBB10_832:
	s_or_b32 exec_lo, exec_lo, s5
	s_delay_alu instid0(VALU_DEP_1)
	v_mov_b32_e32 v8, v1
.LBB10_833:
	s_or_b32 exec_lo, exec_lo, s3
.LBB10_834:
	s_delay_alu instid0(SALU_CYCLE_1)
	s_or_b32 exec_lo, exec_lo, s2
	s_branch .LBB10_911
.LBB10_835:
                                        ; implicit-def: $vgpr4_vgpr5
                                        ; implicit-def: $vgpr7
                                        ; implicit-def: $sgpr24_sgpr25
	s_cbranch_execnz .LBB10_920
	s_branch .LBB10_970
.LBB10_836:
                                        ; implicit-def: $vgpr4_vgpr5
                                        ; implicit-def: $vgpr7
                                        ; implicit-def: $sgpr24_sgpr25
	s_branch .LBB10_970
.LBB10_837:
                                        ; implicit-def: $vgpr2_vgpr3
                                        ; implicit-def: $vgpr8
	s_cbranch_execz .LBB10_911
; %bb.838:
	v_mov_b64_e32 v[6:7], 0
	s_wait_dscnt 0x0
	v_mov_b64_e32 v[2:3], 0
	v_dual_mov_b32 v1, 0 :: v_dual_mov_b32 v9, 0
	s_sub_co_i32 s2, s22, s4
	s_mov_b32 s3, exec_lo
	v_cmpx_gt_u32_e64 s2, v0
	s_cbranch_execz .LBB10_840
; %bb.839:
	s_clause 0x1
	global_load_u8 v9, v[4:5], off
	global_load_b64 v[2:3], v[4:5], off offset:4
.LBB10_840:
	s_wait_xcnt 0x0
	s_or_b32 exec_lo, exec_lo, s3
	v_or_b32_e32 v8, 0x80, v0
	s_delay_alu instid0(VALU_DEP_1)
	v_cmp_gt_u32_e32 vcc_lo, s2, v8
	s_and_saveexec_b32 s3, vcc_lo
	s_cbranch_execz .LBB10_842
; %bb.841:
	s_clause 0x1
	global_load_u8 v1, v[4:5], off offset:1536
	global_load_b64 v[6:7], v[4:5], off offset:1540
.LBB10_842:
	s_wait_xcnt 0x0
	s_or_b32 exec_lo, exec_lo, s3
	s_and_saveexec_b32 s3, vcc_lo
	s_cbranch_execz .LBB10_850
; %bb.843:
	s_wait_loadcnt 0x1
	v_bitop3_b16 v4, v1, 0xff, v9 bitop3:0x80
	s_mov_b32 s4, exec_lo
	s_delay_alu instid0(VALU_DEP_1)
	v_cmpx_ne_u16_e32 0, v4
	s_xor_b32 s4, exec_lo, s4
	s_cbranch_execz .LBB10_845
; %bb.844:
	s_wait_loadcnt 0x0
	v_cmp_lt_f32_e32 vcc_lo, v3, v7
                                        ; implicit-def: $vgpr1
                                        ; implicit-def: $vgpr9
	v_cndmask_b32_e32 v3, v3, v7, vcc_lo
	v_cmp_lt_f32_e32 vcc_lo, v6, v2
	v_cndmask_b32_e32 v2, v2, v6, vcc_lo
                                        ; implicit-def: $vgpr6_vgpr7
.LBB10_845:
	s_or_saveexec_b32 s4, s4
	v_mov_b32_e32 v4, 1
	s_xor_b32 exec_lo, exec_lo, s4
	s_cbranch_execz .LBB10_849
; %bb.846:
	v_and_b32_e32 v4, 1, v9
	s_delay_alu instid0(VALU_DEP_1) | instskip(SKIP_2) | instid1(SALU_CYCLE_1)
	v_cmp_eq_u32_e32 vcc_lo, 1, v4
	v_mov_b32_e32 v4, 1
	s_xor_b32 s6, vcc_lo, -1
	s_and_saveexec_b32 s5, s6
	s_cbranch_execz .LBB10_848
; %bb.847:
	s_wait_loadcnt 0x0
	v_mov_b64_e32 v[2:3], v[6:7]
	v_mov_b32_e32 v4, v1
.LBB10_848:
	s_or_b32 exec_lo, exec_lo, s5
.LBB10_849:
	s_delay_alu instid0(SALU_CYCLE_1) | instskip(NEXT) | instid1(VALU_DEP_1)
	s_or_b32 exec_lo, exec_lo, s4
	v_mov_b32_e32 v9, v4
.LBB10_850:
	s_or_b32 exec_lo, exec_lo, s3
	s_wait_loadcnt 0x1
	v_mbcnt_lo_u32_b32 v1, -1, 0
	s_delay_alu instid0(VALU_DEP_2)
	v_and_b32_e32 v8, 0xff, v9
	s_wait_loadcnt 0x0
	v_and_b32_e32 v6, 0x60, v0
	s_min_u32 s2, s2, 0x80
	v_mov_b32_e32 v11, v3
	v_cmp_ne_u32_e32 vcc_lo, 31, v1
	v_add_nc_u32_e32 v10, 1, v1
	v_sub_nc_u32_e64 v6, s2, v6 clamp
	v_add_co_ci_u32_e64 v4, null, 0, v1, vcc_lo
	s_delay_alu instid0(VALU_DEP_2) | instskip(NEXT) | instid1(VALU_DEP_2)
	v_cmp_lt_u32_e32 vcc_lo, v10, v6
	v_dual_mov_b32 v10, v2 :: v_dual_lshlrev_b32 v5, 2, v4
	ds_bpermute_b32 v7, v5, v8
	ds_bpermute_b32 v4, v5, v2
	;; [unrolled: 1-line block ×3, first 2 shown]
	s_and_saveexec_b32 s3, vcc_lo
	s_delay_alu instid0(SALU_CYCLE_1)
	s_xor_b32 s3, exec_lo, s3
	s_cbranch_execz .LBB10_858
; %bb.851:
	s_wait_dscnt 0x2
	v_and_b32_e32 v8, v7, v8
	s_mov_b32 s4, exec_lo
	s_delay_alu instid0(VALU_DEP_1)
	v_cmpx_ne_u32_e32 0, v8
	s_xor_b32 s4, exec_lo, s4
	s_cbranch_execz .LBB10_853
; %bb.852:
	s_wait_dscnt 0x0
	v_cmp_lt_f32_e32 vcc_lo, v3, v5
                                        ; implicit-def: $vgpr7
                                        ; implicit-def: $vgpr9
	v_cndmask_b32_e32 v5, v3, v5, vcc_lo
	v_cmp_lt_f32_e32 vcc_lo, v4, v2
	v_cndmask_b32_e32 v4, v2, v4, vcc_lo
                                        ; implicit-def: $vgpr2_vgpr3
.LBB10_853:
	s_or_saveexec_b32 s4, s4
	v_mov_b32_e32 v8, 1
	s_xor_b32 exec_lo, exec_lo, s4
	s_cbranch_execz .LBB10_857
; %bb.854:
	v_and_b32_e32 v8, 1, v9
	s_mov_b32 s5, exec_lo
	s_delay_alu instid0(VALU_DEP_1)
	v_cmpx_eq_u32_e32 1, v8
	s_cbranch_execz .LBB10_856
; %bb.855:
	s_wait_dscnt 0x0
	v_mov_b64_e32 v[4:5], v[2:3]
	v_mov_b32_e32 v7, 1
.LBB10_856:
	s_or_b32 exec_lo, exec_lo, s5
	s_delay_alu instid0(VALU_DEP_1)
	v_mov_b32_e32 v8, v7
.LBB10_857:
	s_or_b32 exec_lo, exec_lo, s4
	s_wait_dscnt 0x0
	s_delay_alu instid0(VALU_DEP_3) | instskip(NEXT) | instid1(VALU_DEP_2)
	v_mov_b64_e32 v[2:3], v[4:5]
	v_and_b32_e32 v8, 0xff, v8
	v_dual_mov_b32 v10, v4 :: v_dual_mov_b32 v11, v5
.LBB10_858:
	s_or_b32 exec_lo, exec_lo, s3
	v_cmp_gt_u32_e32 vcc_lo, 30, v1
	v_add_nc_u32_e32 v9, 2, v1
	s_mov_b32 s3, exec_lo
	s_wait_dscnt 0x1
	v_cndmask_b32_e64 v4, 0, 2, vcc_lo
	s_wait_dscnt 0x0
	s_delay_alu instid0(VALU_DEP_1)
	v_add_lshl_u32 v5, v4, v1, 2
	ds_bpermute_b32 v7, v5, v8
	ds_bpermute_b32 v4, v5, v10
	;; [unrolled: 1-line block ×3, first 2 shown]
	v_cmpx_lt_u32_e64 v9, v6
	s_cbranch_execz .LBB10_866
; %bb.859:
	s_wait_dscnt 0x2
	v_and_b32_e32 v9, v8, v7
	s_mov_b32 s4, exec_lo
	s_delay_alu instid0(VALU_DEP_1) | instskip(NEXT) | instid1(VALU_DEP_1)
	v_and_b32_e32 v9, 1, v9
	v_cmpx_eq_u32_e32 1, v9
	s_xor_b32 s4, exec_lo, s4
	s_cbranch_execz .LBB10_861
; %bb.860:
	s_wait_dscnt 0x0
	v_cmp_lt_f32_e32 vcc_lo, v3, v5
                                        ; implicit-def: $vgpr7
                                        ; implicit-def: $vgpr8
	v_cndmask_b32_e32 v5, v3, v5, vcc_lo
	v_cmp_lt_f32_e32 vcc_lo, v4, v2
	v_cndmask_b32_e32 v4, v2, v4, vcc_lo
                                        ; implicit-def: $vgpr2_vgpr3
.LBB10_861:
	s_or_saveexec_b32 s4, s4
	v_mov_b32_e32 v9, 1
	s_xor_b32 exec_lo, exec_lo, s4
	s_cbranch_execz .LBB10_865
; %bb.862:
	v_and_b32_e32 v8, 1, v8
	s_mov_b32 s5, exec_lo
	s_delay_alu instid0(VALU_DEP_1)
	v_cmpx_eq_u32_e32 1, v8
	s_cbranch_execz .LBB10_864
; %bb.863:
	s_wait_dscnt 0x0
	v_mov_b64_e32 v[4:5], v[2:3]
	v_mov_b32_e32 v7, 1
.LBB10_864:
	s_or_b32 exec_lo, exec_lo, s5
	s_delay_alu instid0(VALU_DEP_1)
	v_mov_b32_e32 v9, v7
.LBB10_865:
	s_or_b32 exec_lo, exec_lo, s4
	s_wait_dscnt 0x0
	s_delay_alu instid0(VALU_DEP_3) | instskip(NEXT) | instid1(VALU_DEP_2)
	v_mov_b64_e32 v[2:3], v[4:5]
	v_and_b32_e32 v8, 0xff, v9
	v_dual_mov_b32 v10, v4 :: v_dual_mov_b32 v11, v5
.LBB10_866:
	s_or_b32 exec_lo, exec_lo, s3
	v_cmp_gt_u32_e32 vcc_lo, 28, v1
	v_add_nc_u32_e32 v9, 4, v1
	s_mov_b32 s3, exec_lo
	s_wait_dscnt 0x1
	v_cndmask_b32_e64 v4, 0, 4, vcc_lo
	s_wait_dscnt 0x0
	s_delay_alu instid0(VALU_DEP_1)
	v_add_lshl_u32 v5, v4, v1, 2
	ds_bpermute_b32 v7, v5, v8
	ds_bpermute_b32 v4, v5, v10
	;; [unrolled: 1-line block ×3, first 2 shown]
	v_cmpx_lt_u32_e64 v9, v6
	s_cbranch_execz .LBB10_874
; %bb.867:
	s_wait_dscnt 0x2
	v_and_b32_e32 v9, v8, v7
	s_mov_b32 s4, exec_lo
	s_delay_alu instid0(VALU_DEP_1) | instskip(NEXT) | instid1(VALU_DEP_1)
	v_and_b32_e32 v9, 1, v9
	v_cmpx_eq_u32_e32 1, v9
	s_xor_b32 s4, exec_lo, s4
	s_cbranch_execz .LBB10_869
; %bb.868:
	s_wait_dscnt 0x1
	v_cmp_gt_f32_e32 vcc_lo, v2, v4
                                        ; implicit-def: $vgpr7
                                        ; implicit-def: $vgpr8
	v_cndmask_b32_e32 v4, v2, v4, vcc_lo
	s_wait_dscnt 0x0
	v_cmp_lt_f32_e32 vcc_lo, v3, v5
	v_cndmask_b32_e32 v5, v3, v5, vcc_lo
                                        ; implicit-def: $vgpr2_vgpr3
.LBB10_869:
	s_or_saveexec_b32 s4, s4
	v_mov_b32_e32 v9, 1
	s_xor_b32 exec_lo, exec_lo, s4
	s_cbranch_execz .LBB10_873
; %bb.870:
	v_and_b32_e32 v8, 1, v8
	s_mov_b32 s5, exec_lo
	s_delay_alu instid0(VALU_DEP_1)
	v_cmpx_eq_u32_e32 1, v8
	s_cbranch_execz .LBB10_872
; %bb.871:
	s_wait_dscnt 0x0
	v_mov_b64_e32 v[4:5], v[2:3]
	v_mov_b32_e32 v7, 1
.LBB10_872:
	s_or_b32 exec_lo, exec_lo, s5
	s_delay_alu instid0(VALU_DEP_1)
	v_mov_b32_e32 v9, v7
.LBB10_873:
	s_or_b32 exec_lo, exec_lo, s4
	s_wait_dscnt 0x0
	s_delay_alu instid0(VALU_DEP_3) | instskip(NEXT) | instid1(VALU_DEP_2)
	v_mov_b64_e32 v[2:3], v[4:5]
	v_and_b32_e32 v8, 0xff, v9
	v_dual_mov_b32 v10, v4 :: v_dual_mov_b32 v11, v5
.LBB10_874:
	s_or_b32 exec_lo, exec_lo, s3
	v_cmp_gt_u32_e32 vcc_lo, 24, v1
	v_add_nc_u32_e32 v9, 8, v1
	s_mov_b32 s3, exec_lo
	s_wait_dscnt 0x1
	v_cndmask_b32_e64 v4, 0, 8, vcc_lo
	s_wait_dscnt 0x0
	s_delay_alu instid0(VALU_DEP_1)
	v_add_lshl_u32 v5, v4, v1, 2
	ds_bpermute_b32 v7, v5, v8
	ds_bpermute_b32 v4, v5, v10
	;; [unrolled: 1-line block ×3, first 2 shown]
	v_cmpx_lt_u32_e64 v9, v6
	s_cbranch_execz .LBB10_882
; %bb.875:
	s_wait_dscnt 0x2
	v_and_b32_e32 v9, v8, v7
	s_mov_b32 s4, exec_lo
	s_delay_alu instid0(VALU_DEP_1) | instskip(NEXT) | instid1(VALU_DEP_1)
	v_and_b32_e32 v9, 1, v9
	v_cmpx_eq_u32_e32 1, v9
	s_xor_b32 s4, exec_lo, s4
	s_cbranch_execz .LBB10_877
; %bb.876:
	s_wait_dscnt 0x0
	v_cmp_gt_f32_e32 vcc_lo, v5, v3
                                        ; implicit-def: $vgpr7
                                        ; implicit-def: $vgpr8
	v_cndmask_b32_e32 v5, v3, v5, vcc_lo
	v_cmp_gt_f32_e32 vcc_lo, v2, v4
	v_cndmask_b32_e32 v4, v2, v4, vcc_lo
                                        ; implicit-def: $vgpr2_vgpr3
.LBB10_877:
	s_or_saveexec_b32 s4, s4
	v_mov_b32_e32 v9, 1
	s_xor_b32 exec_lo, exec_lo, s4
	s_cbranch_execz .LBB10_881
; %bb.878:
	v_and_b32_e32 v8, 1, v8
	s_mov_b32 s5, exec_lo
	s_delay_alu instid0(VALU_DEP_1)
	v_cmpx_eq_u32_e32 1, v8
	s_cbranch_execz .LBB10_880
; %bb.879:
	s_wait_dscnt 0x0
	v_mov_b64_e32 v[4:5], v[2:3]
	v_mov_b32_e32 v7, 1
.LBB10_880:
	s_or_b32 exec_lo, exec_lo, s5
	s_delay_alu instid0(VALU_DEP_1)
	v_mov_b32_e32 v9, v7
.LBB10_881:
	s_or_b32 exec_lo, exec_lo, s4
	s_wait_dscnt 0x0
	s_delay_alu instid0(VALU_DEP_3) | instskip(NEXT) | instid1(VALU_DEP_2)
	v_mov_b64_e32 v[2:3], v[4:5]
	v_and_b32_e32 v8, 0xff, v9
	v_dual_mov_b32 v10, v4 :: v_dual_mov_b32 v11, v5
.LBB10_882:
	s_or_b32 exec_lo, exec_lo, s3
	s_wait_dscnt 0x2
	v_lshlrev_b32_e32 v7, 2, v1
	s_wait_dscnt 0x0
	s_delay_alu instid0(VALU_DEP_1) | instskip(SKIP_2) | instid1(VALU_DEP_1)
	v_or_b32_e32 v5, 64, v7
	ds_bpermute_b32 v4, v5, v10
	v_add_nc_u32_e32 v10, 16, v1
	v_cmp_lt_u32_e32 vcc_lo, v10, v6
	v_mov_b32_e32 v6, v8
	ds_bpermute_b32 v9, v5, v8
	ds_bpermute_b32 v5, v5, v11
	s_and_saveexec_b32 s3, vcc_lo
	s_cbranch_execz .LBB10_890
; %bb.883:
	s_wait_dscnt 0x1
	v_and_b32_e32 v6, v8, v9
	s_mov_b32 s4, exec_lo
	s_delay_alu instid0(VALU_DEP_1) | instskip(NEXT) | instid1(VALU_DEP_1)
	v_and_b32_e32 v6, 1, v6
	v_cmpx_eq_u32_e32 1, v6
	s_xor_b32 s4, exec_lo, s4
	s_cbranch_execz .LBB10_885
; %bb.884:
	s_wait_dscnt 0x0
	v_cmp_gt_f32_e32 vcc_lo, v5, v3
                                        ; implicit-def: $vgpr9
                                        ; implicit-def: $vgpr8
	v_cndmask_b32_e32 v5, v3, v5, vcc_lo
	v_cmp_gt_f32_e32 vcc_lo, v2, v4
	v_cndmask_b32_e32 v4, v2, v4, vcc_lo
                                        ; implicit-def: $vgpr2_vgpr3
.LBB10_885:
	s_or_saveexec_b32 s4, s4
	v_mov_b32_e32 v6, 1
	s_xor_b32 exec_lo, exec_lo, s4
	s_cbranch_execz .LBB10_889
; %bb.886:
	v_and_b32_e32 v6, 1, v8
	s_mov_b32 s5, exec_lo
	s_delay_alu instid0(VALU_DEP_1)
	v_cmpx_eq_u32_e32 1, v6
	s_cbranch_execz .LBB10_888
; %bb.887:
	s_wait_dscnt 0x0
	v_mov_b64_e32 v[4:5], v[2:3]
	v_mov_b32_e32 v9, 1
.LBB10_888:
	s_or_b32 exec_lo, exec_lo, s5
	s_delay_alu instid0(VALU_DEP_1)
	v_mov_b32_e32 v6, v9
.LBB10_889:
	s_or_b32 exec_lo, exec_lo, s4
	s_wait_dscnt 0x0
	s_delay_alu instid0(VALU_DEP_3) | instskip(NEXT) | instid1(VALU_DEP_2)
	v_mov_b64_e32 v[2:3], v[4:5]
	v_and_b32_e32 v8, 0xff, v6
.LBB10_890:
	s_or_b32 exec_lo, exec_lo, s3
	s_delay_alu instid0(SALU_CYCLE_1)
	s_mov_b32 s3, exec_lo
	v_cmpx_eq_u32_e32 0, v1
	s_cbranch_execz .LBB10_892
; %bb.891:
	s_wait_dscnt 0x2
	v_lshrrev_b32_e32 v4, 5, v0
	s_delay_alu instid0(VALU_DEP_1)
	v_mul_u32_u24_e32 v4, 12, v4
	ds_store_b8 v4, v6
	ds_store_2addr_b32 v4, v2, v3 offset0:1 offset1:2
.LBB10_892:
	s_or_b32 exec_lo, exec_lo, s3
	s_delay_alu instid0(SALU_CYCLE_1)
	s_mov_b32 s3, exec_lo
	s_wait_dscnt 0x0
	s_barrier_signal -1
	s_barrier_wait -1
	v_cmpx_gt_u32_e32 4, v0
	s_cbranch_execz .LBB10_910
; %bb.893:
	v_mul_u32_u24_e32 v2, 12, v1
	v_and_b32_e32 v6, 3, v1
	s_add_co_i32 s2, s2, 31
	ds_load_u8 v9, v2
	ds_load_2addr_b32 v[2:3], v2 offset0:1 offset1:2
	v_cmp_ne_u32_e32 vcc_lo, 3, v6
	s_lshr_b32 s2, s2, 5
	v_add_co_ci_u32_e64 v1, null, 0, v1, vcc_lo
	s_delay_alu instid0(VALU_DEP_1)
	v_dual_lshlrev_b32 v5, 2, v1 :: v_dual_add_nc_u32 v10, 1, v6
	s_wait_dscnt 0x1
	v_and_b32_e32 v8, 0xff, v9
	s_wait_dscnt 0x0
	ds_bpermute_b32 v4, v5, v2
	v_mov_b32_e32 v11, v3
	v_cmp_gt_u32_e32 vcc_lo, s2, v10
	v_mov_b32_e32 v10, v2
	ds_bpermute_b32 v1, v5, v8
	ds_bpermute_b32 v5, v5, v3
	s_and_saveexec_b32 s4, vcc_lo
	s_cbranch_execz .LBB10_901
; %bb.894:
	s_wait_dscnt 0x1
	v_and_b32_e32 v8, v8, v1
	s_mov_b32 s5, exec_lo
	s_delay_alu instid0(VALU_DEP_1) | instskip(NEXT) | instid1(VALU_DEP_1)
	v_and_b32_e32 v8, 1, v8
	v_cmpx_eq_u32_e32 1, v8
	s_xor_b32 s5, exec_lo, s5
	s_cbranch_execz .LBB10_896
; %bb.895:
	s_wait_dscnt 0x0
	v_cmp_gt_f32_e32 vcc_lo, v5, v3
                                        ; implicit-def: $vgpr1
                                        ; implicit-def: $vgpr9
	v_cndmask_b32_e32 v5, v3, v5, vcc_lo
	v_cmp_gt_f32_e32 vcc_lo, v2, v4
	v_cndmask_b32_e32 v4, v2, v4, vcc_lo
                                        ; implicit-def: $vgpr2_vgpr3
.LBB10_896:
	s_or_saveexec_b32 s5, s5
	v_mov_b32_e32 v8, 1
	s_xor_b32 exec_lo, exec_lo, s5
	s_cbranch_execz .LBB10_900
; %bb.897:
	v_and_b32_e32 v8, 1, v9
	s_mov_b32 s6, exec_lo
	s_delay_alu instid0(VALU_DEP_1)
	v_cmpx_eq_u32_e32 1, v8
	s_cbranch_execz .LBB10_899
; %bb.898:
	s_wait_dscnt 0x0
	v_mov_b64_e32 v[4:5], v[2:3]
	v_mov_b32_e32 v1, 1
.LBB10_899:
	s_or_b32 exec_lo, exec_lo, s6
	s_delay_alu instid0(VALU_DEP_1)
	v_mov_b32_e32 v8, v1
.LBB10_900:
	s_or_b32 exec_lo, exec_lo, s5
	s_wait_dscnt 0x0
	s_delay_alu instid0(VALU_DEP_3) | instskip(NEXT) | instid1(VALU_DEP_2)
	v_mov_b64_e32 v[2:3], v[4:5]
	v_and_b32_e32 v8, 0xff, v8
	v_dual_mov_b32 v10, v4 :: v_dual_mov_b32 v11, v5
.LBB10_901:
	s_or_b32 exec_lo, exec_lo, s4
	s_wait_dscnt 0x0
	v_dual_add_nc_u32 v6, 2, v6 :: v_dual_bitop2_b32 v5, 8, v7 bitop3:0x54
	ds_bpermute_b32 v1, v5, v8
	ds_bpermute_b32 v4, v5, v10
	;; [unrolled: 1-line block ×3, first 2 shown]
	v_cmp_gt_u32_e32 vcc_lo, s2, v6
	s_and_saveexec_b32 s2, vcc_lo
	s_cbranch_execz .LBB10_909
; %bb.902:
	s_wait_dscnt 0x2
	v_and_b32_e32 v6, v8, v1
	s_mov_b32 s4, exec_lo
	s_delay_alu instid0(VALU_DEP_1) | instskip(NEXT) | instid1(VALU_DEP_1)
	v_and_b32_e32 v6, 1, v6
	v_cmpx_eq_u32_e32 1, v6
	s_xor_b32 s4, exec_lo, s4
	s_cbranch_execz .LBB10_904
; %bb.903:
	s_wait_dscnt 0x0
	v_cmp_gt_f32_e32 vcc_lo, v5, v3
                                        ; implicit-def: $vgpr1
                                        ; implicit-def: $vgpr8
	v_cndmask_b32_e32 v5, v3, v5, vcc_lo
	v_cmp_gt_f32_e32 vcc_lo, v2, v4
	v_cndmask_b32_e32 v4, v2, v4, vcc_lo
                                        ; implicit-def: $vgpr2_vgpr3
.LBB10_904:
	s_or_saveexec_b32 s4, s4
	v_mov_b32_e32 v6, 1
	s_xor_b32 exec_lo, exec_lo, s4
	s_cbranch_execz .LBB10_908
; %bb.905:
	v_and_b32_e32 v6, 1, v8
	s_mov_b32 s5, exec_lo
	s_delay_alu instid0(VALU_DEP_1)
	v_cmpx_eq_u32_e32 1, v6
	s_cbranch_execz .LBB10_907
; %bb.906:
	s_wait_dscnt 0x0
	v_mov_b64_e32 v[4:5], v[2:3]
	v_mov_b32_e32 v1, 1
.LBB10_907:
	s_or_b32 exec_lo, exec_lo, s5
	s_delay_alu instid0(VALU_DEP_1)
	v_mov_b32_e32 v6, v1
.LBB10_908:
	s_or_b32 exec_lo, exec_lo, s4
	s_wait_dscnt 0x0
	s_delay_alu instid0(VALU_DEP_3) | instskip(NEXT) | instid1(VALU_DEP_2)
	v_mov_b64_e32 v[2:3], v[4:5]
	v_mov_b32_e32 v8, v6
.LBB10_909:
	s_or_b32 exec_lo, exec_lo, s2
.LBB10_910:
	s_delay_alu instid0(SALU_CYCLE_1)
	s_or_b32 exec_lo, exec_lo, s3
.LBB10_911:
	s_delay_alu instid0(SALU_CYCLE_1)
	s_mov_b32 s2, exec_lo
                                        ; implicit-def: $vgpr4_vgpr5
                                        ; implicit-def: $vgpr7
	v_cmpx_eq_u32_e32 0, v0
	s_xor_b32 s2, exec_lo, s2
	s_cbranch_execz .LBB10_919
; %bb.912:
	s_wait_dscnt 0x0
	v_mov_b64_e32 v[4:5], s[18:19]
	v_mov_b32_e32 v7, s17
	s_cmp_eq_u64 s[22:23], 0
	s_cbranch_scc1 .LBB10_918
; %bb.913:
	v_and_b32_e32 v1, 1, v8
	s_bitcmp1_b32 s17, 0
                                        ; implicit-def: $vgpr4_vgpr5
                                        ; implicit-def: $vgpr7
	s_cselect_b32 s4, -1, 0
	s_delay_alu instid0(VALU_DEP_1) | instskip(SKIP_1) | instid1(SALU_CYCLE_1)
	v_cmp_eq_u32_e32 vcc_lo, 1, v1
	s_and_b32 s3, s4, vcc_lo
	s_xor_b32 s3, s3, -1
	s_delay_alu instid0(SALU_CYCLE_1) | instskip(NEXT) | instid1(SALU_CYCLE_1)
	s_and_saveexec_b32 s5, s3
	s_xor_b32 s3, exec_lo, s5
; %bb.914:
	v_cndmask_b32_e64 v7, v8, 1, s4
	v_cndmask_b32_e64 v5, v3, s19, s4
	;; [unrolled: 1-line block ×3, first 2 shown]
                                        ; implicit-def: $vgpr2_vgpr3
; %bb.915:
	s_and_not1_saveexec_b32 s3, s3
; %bb.916:
	v_cmp_lt_f32_e32 vcc_lo, s19, v3
	v_dual_mov_b32 v7, 1 :: v_dual_cndmask_b32 v5, s19, v3, vcc_lo
	v_cmp_gt_f32_e32 vcc_lo, s18, v2
	v_cndmask_b32_e32 v4, s18, v2, vcc_lo
; %bb.917:
	s_or_b32 exec_lo, exec_lo, s3
.LBB10_918:
	s_delay_alu instid0(SALU_CYCLE_1)
	s_or_b32 s9, s9, exec_lo
.LBB10_919:
	s_or_b32 exec_lo, exec_lo, s2
	s_branch .LBB10_970
.LBB10_920:
	s_cmp_eq_u32 s26, 1
	s_cbranch_scc0 .LBB10_969
; %bb.921:
	s_bfe_u32 s2, ttmp6, 0x4000c
	s_and_b32 s3, ttmp6, 15
	s_add_co_i32 s2, s2, 1
	s_getreg_b32 s4, hwreg(HW_REG_IB_STS2, 6, 4)
	s_mul_i32 s2, ttmp9, s2
	s_mov_b32 s5, 0
	s_add_co_i32 s3, s3, s2
	s_cmp_eq_u32 s4, 0
	s_mov_b32 s25, s5
	s_cselect_b32 s24, ttmp9, s3
	s_lshr_b64 s[2:3], s[22:23], 7
	s_lshl_b32 s4, s24, 7
	s_cmp_lg_u64 s[2:3], s[24:25]
	s_cbranch_scc0 .LBB10_973
; %bb.922:
	s_mul_u64 s[2:3], s[4:5], 12
	s_delay_alu instid0(SALU_CYCLE_1)
	s_add_nc_u64 s[2:3], s[20:21], s[2:3]
	s_wait_dscnt 0x0
	v_mad_nc_u64_u32 v[2:3], v0, 12, s[2:3]
	s_clause 0x1
	global_load_u8 v1, v[2:3], off
	global_load_b64 v[4:5], v[2:3], off offset:4
	s_wait_loadcnt 0x1
	v_and_b32_e32 v6, 0xff, v1
	v_and_b32_e32 v1, 1, v1
	s_wait_loadcnt 0x0
	v_mov_b32_dpp v3, v5 quad_perm:[1,0,3,2] row_mask:0xf bank_mask:0xf
	s_delay_alu instid0(VALU_DEP_3) | instskip(NEXT) | instid1(VALU_DEP_3)
	v_mov_b32_dpp v2, v6 quad_perm:[1,0,3,2] row_mask:0xf bank_mask:0xf
	v_cmp_eq_u32_e64 s2, 1, v1
                                        ; implicit-def: $vgpr1
	s_delay_alu instid0(VALU_DEP_2) | instskip(NEXT) | instid1(VALU_DEP_1)
	v_and_b32_e32 v2, 1, v2
	v_cmp_eq_u32_e32 vcc_lo, 1, v2
	v_mov_b32_dpp v2, v4 quad_perm:[1,0,3,2] row_mask:0xf bank_mask:0xf
	s_and_b32 s2, vcc_lo, s2
	s_delay_alu instid0(SALU_CYCLE_1) | instskip(NEXT) | instid1(SALU_CYCLE_1)
	s_xor_b32 s2, s2, -1
	s_and_saveexec_b32 s3, s2
	s_delay_alu instid0(SALU_CYCLE_1)
	s_xor_b32 s2, exec_lo, s3
	s_cbranch_execz .LBB10_926
; %bb.923:
	v_mov_b32_e32 v1, 1
	s_xor_b32 s6, vcc_lo, -1
	s_delay_alu instid0(SALU_CYCLE_1)
	s_and_saveexec_b32 s3, s6
; %bb.924:
	v_mov_b64_e32 v[2:3], v[4:5]
	v_mov_b32_e32 v1, v6
; %bb.925:
	s_or_b32 exec_lo, exec_lo, s3
                                        ; implicit-def: $vgpr4_vgpr5
.LBB10_926:
	s_and_not1_saveexec_b32 s2, s2
; %bb.927:
	s_delay_alu instid0(VALU_DEP_2) | instskip(SKIP_1) | instid1(VALU_DEP_4)
	v_cmp_lt_f32_e32 vcc_lo, v3, v5
	v_dual_mov_b32 v1, 1 :: v_dual_cndmask_b32 v3, v3, v5, vcc_lo
	v_cmp_lt_f32_e32 vcc_lo, v4, v2
	v_cndmask_b32_e32 v2, v2, v4, vcc_lo
; %bb.928:
	s_or_b32 exec_lo, exec_lo, s2
	s_delay_alu instid0(VALU_DEP_3) | instskip(NEXT) | instid1(VALU_DEP_1)
	v_mov_b32_dpp v4, v1 quad_perm:[2,3,0,1] row_mask:0xf bank_mask:0xf
	v_and_b32_e32 v5, v4, v1
	v_and_b32_e32 v6, 1, v4
	v_mov_b32_dpp v4, v2 quad_perm:[2,3,0,1] row_mask:0xf bank_mask:0xf
	s_delay_alu instid0(VALU_DEP_3) | instskip(SKIP_1) | instid1(VALU_DEP_4)
	v_and_b32_e32 v7, 1, v5
	v_mov_b32_dpp v5, v3 quad_perm:[2,3,0,1] row_mask:0xf bank_mask:0xf
	v_cmp_ne_u32_e32 vcc_lo, 1, v6
                                        ; implicit-def: $vgpr6
	s_delay_alu instid0(VALU_DEP_3) | instskip(SKIP_1) | instid1(SALU_CYCLE_1)
	v_cmp_ne_u32_e64 s2, 1, v7
	s_and_saveexec_b32 s3, s2
	s_xor_b32 s2, exec_lo, s3
	s_cbranch_execz .LBB10_932
; %bb.929:
	v_mov_b32_e32 v6, 1
	s_and_saveexec_b32 s3, vcc_lo
; %bb.930:
	v_mov_b64_e32 v[4:5], v[2:3]
	v_mov_b32_e32 v6, v1
; %bb.931:
	s_or_b32 exec_lo, exec_lo, s3
                                        ; implicit-def: $vgpr2_vgpr3
.LBB10_932:
	s_and_not1_saveexec_b32 s2, s2
; %bb.933:
	s_delay_alu instid0(VALU_DEP_2) | instskip(SKIP_1) | instid1(VALU_DEP_4)
	v_cmp_lt_f32_e32 vcc_lo, v5, v3
	v_dual_mov_b32 v6, 1 :: v_dual_cndmask_b32 v5, v5, v3
	v_cmp_lt_f32_e32 vcc_lo, v2, v4
	v_cndmask_b32_e32 v4, v4, v2, vcc_lo
; %bb.934:
	s_or_b32 exec_lo, exec_lo, s2
	s_delay_alu instid0(VALU_DEP_3) | instskip(SKIP_1) | instid1(VALU_DEP_2)
	v_mov_b32_dpp v1, v6 row_ror:4 row_mask:0xf bank_mask:0xf
	v_mov_b32_dpp v3, v5 row_ror:4 row_mask:0xf bank_mask:0xf
	v_and_b32_e32 v2, v1, v6
	v_and_b32_e32 v1, 1, v1
	s_delay_alu instid0(VALU_DEP_2) | instskip(SKIP_1) | instid1(VALU_DEP_3)
	v_and_b32_e32 v7, 1, v2
	v_mov_b32_dpp v2, v4 row_ror:4 row_mask:0xf bank_mask:0xf
	v_cmp_ne_u32_e32 vcc_lo, 1, v1
                                        ; implicit-def: $vgpr1
	s_delay_alu instid0(VALU_DEP_3) | instskip(SKIP_1) | instid1(SALU_CYCLE_1)
	v_cmp_ne_u32_e64 s2, 1, v7
	s_and_saveexec_b32 s3, s2
	s_xor_b32 s2, exec_lo, s3
	s_cbranch_execz .LBB10_938
; %bb.935:
	v_mov_b32_e32 v1, 1
	s_and_saveexec_b32 s3, vcc_lo
; %bb.936:
	v_mov_b64_e32 v[2:3], v[4:5]
	v_mov_b32_e32 v1, v6
; %bb.937:
	s_or_b32 exec_lo, exec_lo, s3
                                        ; implicit-def: $vgpr4_vgpr5
.LBB10_938:
	s_and_not1_saveexec_b32 s2, s2
; %bb.939:
	s_delay_alu instid0(VALU_DEP_2) | instskip(SKIP_1) | instid1(VALU_DEP_4)
	v_cmp_lt_f32_e32 vcc_lo, v3, v5
	v_dual_mov_b32 v1, 1 :: v_dual_cndmask_b32 v3, v3, v5, vcc_lo
	v_cmp_lt_f32_e32 vcc_lo, v4, v2
	v_cndmask_b32_e32 v2, v2, v4, vcc_lo
; %bb.940:
	s_or_b32 exec_lo, exec_lo, s2
	s_delay_alu instid0(VALU_DEP_3) | instskip(NEXT) | instid1(VALU_DEP_1)
	v_mov_b32_dpp v4, v1 row_ror:8 row_mask:0xf bank_mask:0xf
	v_and_b32_e32 v5, v4, v1
	v_and_b32_e32 v6, 1, v4
	v_mov_b32_dpp v4, v2 row_ror:8 row_mask:0xf bank_mask:0xf
	s_delay_alu instid0(VALU_DEP_3) | instskip(SKIP_1) | instid1(VALU_DEP_4)
	v_and_b32_e32 v7, 1, v5
	v_mov_b32_dpp v5, v3 row_ror:8 row_mask:0xf bank_mask:0xf
	v_cmp_ne_u32_e32 vcc_lo, 1, v6
                                        ; implicit-def: $vgpr6
	s_delay_alu instid0(VALU_DEP_3) | instskip(SKIP_1) | instid1(SALU_CYCLE_1)
	v_cmp_ne_u32_e64 s2, 1, v7
	s_and_saveexec_b32 s3, s2
	s_xor_b32 s2, exec_lo, s3
	s_cbranch_execz .LBB10_944
; %bb.941:
	v_mov_b32_e32 v6, 1
	s_and_saveexec_b32 s3, vcc_lo
; %bb.942:
	v_mov_b64_e32 v[4:5], v[2:3]
	v_mov_b32_e32 v6, v1
; %bb.943:
	s_or_b32 exec_lo, exec_lo, s3
                                        ; implicit-def: $vgpr2_vgpr3
.LBB10_944:
	s_and_not1_saveexec_b32 s2, s2
; %bb.945:
	s_delay_alu instid0(VALU_DEP_2) | instskip(SKIP_1) | instid1(VALU_DEP_4)
	v_cmp_lt_f32_e32 vcc_lo, v5, v3
	v_dual_mov_b32 v6, 1 :: v_dual_cndmask_b32 v5, v5, v3
	v_cmp_lt_f32_e32 vcc_lo, v2, v4
	v_cndmask_b32_e32 v4, v4, v2, vcc_lo
; %bb.946:
	s_or_b32 exec_lo, exec_lo, s2
	ds_swizzle_b32 v1, v6 offset:swizzle(BROADCAST,32,15)
	ds_swizzle_b32 v2, v4 offset:swizzle(BROADCAST,32,15)
	;; [unrolled: 1-line block ×3, first 2 shown]
	s_wait_dscnt 0x2
	v_and_b32_e32 v7, v1, v6
	v_and_b32_e32 v1, 1, v1
	s_delay_alu instid0(VALU_DEP_2) | instskip(NEXT) | instid1(VALU_DEP_2)
	v_and_b32_e32 v7, 1, v7
	v_cmp_ne_u32_e32 vcc_lo, 1, v1
                                        ; implicit-def: $vgpr1
	s_delay_alu instid0(VALU_DEP_2) | instskip(SKIP_1) | instid1(SALU_CYCLE_1)
	v_cmp_ne_u32_e64 s2, 1, v7
	s_and_saveexec_b32 s3, s2
	s_xor_b32 s2, exec_lo, s3
	s_cbranch_execz .LBB10_950
; %bb.947:
	v_mov_b32_e32 v1, 1
	s_and_saveexec_b32 s3, vcc_lo
	s_cbranch_execz .LBB10_949
; %bb.948:
	s_wait_dscnt 0x0
	v_mov_b64_e32 v[2:3], v[4:5]
	v_mov_b32_e32 v1, v6
.LBB10_949:
	s_or_b32 exec_lo, exec_lo, s3
                                        ; implicit-def: $vgpr4_vgpr5
.LBB10_950:
	s_and_not1_saveexec_b32 s2, s2
	s_cbranch_execz .LBB10_952
; %bb.951:
	s_wait_dscnt 0x0
	s_delay_alu instid0(VALU_DEP_2)
	v_cmp_lt_f32_e32 vcc_lo, v3, v5
	v_dual_mov_b32 v1, 1 :: v_dual_cndmask_b32 v3, v3, v5, vcc_lo
	v_cmp_lt_f32_e32 vcc_lo, v4, v2
	v_cndmask_b32_e32 v2, v2, v4, vcc_lo
.LBB10_952:
	s_or_b32 exec_lo, exec_lo, s2
	v_mov_b32_e32 v4, 0
	s_mov_b32 s2, exec_lo
	ds_bpermute_b32 v6, v4, v1 offset:124
	s_wait_dscnt 0x2
	ds_bpermute_b32 v2, v4, v2 offset:124
	s_wait_dscnt 0x2
	ds_bpermute_b32 v3, v4, v3 offset:124
	v_mbcnt_lo_u32_b32 v1, -1, 0
	s_delay_alu instid0(VALU_DEP_1)
	v_cmpx_eq_u32_e32 0, v1
	s_cbranch_execz .LBB10_954
; %bb.953:
	v_lshrrev_b32_e32 v4, 5, v0
	s_delay_alu instid0(VALU_DEP_1)
	v_mul_u32_u24_e32 v4, 12, v4
	s_wait_dscnt 0x2
	ds_store_b8 v4, v6 offset:96
	s_wait_dscnt 0x1
	ds_store_2addr_b32 v4, v2, v3 offset0:25 offset1:26
.LBB10_954:
	s_or_b32 exec_lo, exec_lo, s2
	s_delay_alu instid0(SALU_CYCLE_1)
	s_mov_b32 s2, exec_lo
	s_wait_dscnt 0x0
	s_barrier_signal -1
	s_barrier_wait -1
	v_cmpx_gt_u32_e32 32, v0
	s_cbranch_execz .LBB10_968
; %bb.955:
	v_and_b32_e32 v2, 3, v1
	s_mov_b32 s3, exec_lo
	s_delay_alu instid0(VALU_DEP_1) | instskip(SKIP_1) | instid1(VALU_DEP_1)
	v_cmp_ne_u32_e32 vcc_lo, 3, v2
	v_add_co_ci_u32_e64 v4, null, 0, v1, vcc_lo
	v_lshlrev_b32_e32 v7, 2, v4
	v_mul_u32_u24_e32 v3, 12, v2
	ds_load_u8 v8, v3 offset:96
	ds_load_2addr_b32 v[2:3], v3 offset0:25 offset1:26
	s_wait_dscnt 0x1
	v_and_b32_e32 v5, 0xff, v8
	s_wait_dscnt 0x0
	ds_bpermute_b32 v4, v7, v2
	ds_bpermute_b32 v6, v7, v5
	;; [unrolled: 1-line block ×3, first 2 shown]
	s_wait_dscnt 0x1
	v_and_b32_e32 v7, v8, v6
	s_delay_alu instid0(VALU_DEP_1) | instskip(NEXT) | instid1(VALU_DEP_1)
	v_and_b32_e32 v7, 1, v7
	v_cmpx_eq_u32_e32 1, v7
	s_xor_b32 s3, exec_lo, s3
	s_cbranch_execz .LBB10_957
; %bb.956:
	s_wait_dscnt 0x0
	v_cmp_gt_f32_e32 vcc_lo, v5, v3
                                        ; implicit-def: $vgpr6
                                        ; implicit-def: $vgpr8
	v_cndmask_b32_e32 v5, v3, v5, vcc_lo
	v_cmp_gt_f32_e32 vcc_lo, v2, v4
	v_cndmask_b32_e32 v4, v2, v4, vcc_lo
                                        ; implicit-def: $vgpr2_vgpr3
.LBB10_957:
	s_or_saveexec_b32 s3, s3
	v_dual_lshlrev_b32 v1, 2, v1 :: v_dual_mov_b32 v7, 1
	s_xor_b32 exec_lo, exec_lo, s3
	s_cbranch_execz .LBB10_961
; %bb.958:
	v_and_b32_e32 v7, 1, v8
	s_mov_b32 s6, exec_lo
	s_delay_alu instid0(VALU_DEP_1)
	v_cmpx_eq_u32_e32 1, v7
	s_cbranch_execz .LBB10_960
; %bb.959:
	s_wait_dscnt 0x0
	v_mov_b64_e32 v[4:5], v[2:3]
	v_mov_b32_e32 v6, 1
.LBB10_960:
	s_or_b32 exec_lo, exec_lo, s6
	s_delay_alu instid0(VALU_DEP_1)
	v_mov_b32_e32 v7, v6
.LBB10_961:
	s_or_b32 exec_lo, exec_lo, s3
	s_delay_alu instid0(VALU_DEP_1)
	v_and_b32_e32 v2, 0xff, v7
	v_or_b32_e32 v3, 8, v1
	s_mov_b32 s3, exec_lo
	ds_bpermute_b32 v1, v3, v2
	ds_bpermute_b32 v2, v3, v4
	s_wait_dscnt 0x2
	ds_bpermute_b32 v3, v3, v5
	s_wait_dscnt 0x2
	v_and_b32_e32 v6, v7, v1
	s_delay_alu instid0(VALU_DEP_1) | instskip(NEXT) | instid1(VALU_DEP_1)
	v_and_b32_e32 v6, 1, v6
	v_cmpx_eq_u32_e32 1, v6
	s_xor_b32 s3, exec_lo, s3
	s_cbranch_execz .LBB10_963
; %bb.962:
	s_wait_dscnt 0x0
	v_cmp_gt_f32_e32 vcc_lo, v3, v5
                                        ; implicit-def: $vgpr1
                                        ; implicit-def: $vgpr7
	v_cndmask_b32_e32 v3, v5, v3, vcc_lo
	v_cmp_gt_f32_e32 vcc_lo, v4, v2
	v_cndmask_b32_e32 v2, v4, v2, vcc_lo
                                        ; implicit-def: $vgpr4_vgpr5
.LBB10_963:
	s_or_saveexec_b32 s3, s3
	v_mov_b32_e32 v6, 1
	s_xor_b32 exec_lo, exec_lo, s3
	s_cbranch_execz .LBB10_967
; %bb.964:
	v_and_b32_e32 v6, 1, v7
	s_mov_b32 s6, exec_lo
	s_delay_alu instid0(VALU_DEP_1)
	v_cmpx_eq_u32_e32 1, v6
	s_cbranch_execz .LBB10_966
; %bb.965:
	s_wait_dscnt 0x0
	v_mov_b64_e32 v[2:3], v[4:5]
	v_mov_b32_e32 v1, 1
.LBB10_966:
	s_or_b32 exec_lo, exec_lo, s6
	s_delay_alu instid0(VALU_DEP_1)
	v_mov_b32_e32 v6, v1
.LBB10_967:
	s_or_b32 exec_lo, exec_lo, s3
.LBB10_968:
	s_delay_alu instid0(SALU_CYCLE_1)
	s_or_b32 exec_lo, exec_lo, s2
	s_branch .LBB10_1037
.LBB10_969:
                                        ; implicit-def: $vgpr4_vgpr5
                                        ; implicit-def: $vgpr7
                                        ; implicit-def: $sgpr24_sgpr25
.LBB10_970:
	s_and_saveexec_b32 s2, s9
	s_cbranch_execz .LBB10_972
.LBB10_971:
	s_load_b64 s[0:1], s[0:1], 0x18
	v_mov_b32_e32 v0, 0
	s_mul_u64 s[2:3], s[24:25], 12
	s_wait_kmcnt 0x0
	s_add_nc_u64 s[0:1], s[0:1], s[2:3]
	global_store_b8 v0, v7, s[0:1]
	s_wait_dscnt 0x0
	global_store_b64 v0, v[4:5], s[0:1] offset:4
.LBB10_972:
	s_endpgm
.LBB10_973:
                                        ; implicit-def: $vgpr2_vgpr3
                                        ; implicit-def: $vgpr6
	s_cbranch_execz .LBB10_1037
; %bb.974:
	s_wait_dscnt 0x0
	v_mov_b64_e32 v[2:3], 0
	v_mov_b32_e32 v8, 0
	s_sub_co_i32 s2, s22, s4
	s_mov_b32 s3, exec_lo
	v_cmpx_gt_u32_e64 s2, v0
	s_cbranch_execz .LBB10_976
; %bb.975:
	s_mul_u64 s[4:5], s[4:5], 12
	s_delay_alu instid0(SALU_CYCLE_1) | instskip(NEXT) | instid1(SALU_CYCLE_1)
	s_add_nc_u64 s[4:5], s[20:21], s[4:5]
	v_mad_nc_u64_u32 v[4:5], v0, 12, s[4:5]
	s_clause 0x1
	global_load_u8 v8, v[4:5], off
	global_load_b64 v[2:3], v[4:5], off offset:4
.LBB10_976:
	s_wait_xcnt 0x0
	s_or_b32 exec_lo, exec_lo, s3
	v_mbcnt_lo_u32_b32 v1, -1, 0
	s_wait_loadcnt 0x1
	v_and_b32_e32 v6, 0xff, v8
	v_and_b32_e32 v7, 0x60, v0
	s_min_u32 s2, s2, 0x80
	s_wait_loadcnt 0x0
	v_mov_b32_e32 v10, v3
	v_cmp_ne_u32_e32 vcc_lo, 31, v1
	v_add_nc_u32_e32 v9, 1, v1
	v_sub_nc_u32_e64 v7, s2, v7 clamp
	v_add_co_ci_u32_e64 v4, null, 0, v1, vcc_lo
	s_delay_alu instid0(VALU_DEP_2) | instskip(NEXT) | instid1(VALU_DEP_2)
	v_cmp_lt_u32_e32 vcc_lo, v9, v7
	v_dual_mov_b32 v9, v2 :: v_dual_lshlrev_b32 v5, 2, v4
	ds_bpermute_b32 v11, v5, v6
	ds_bpermute_b32 v4, v5, v2
	;; [unrolled: 1-line block ×3, first 2 shown]
	s_and_saveexec_b32 s3, vcc_lo
	s_cbranch_execz .LBB10_984
; %bb.977:
	s_wait_dscnt 0x2
	v_and_b32_e32 v6, v11, v6
	s_mov_b32 s4, exec_lo
	s_delay_alu instid0(VALU_DEP_1)
	v_cmpx_ne_u32_e32 0, v6
	s_xor_b32 s4, exec_lo, s4
	s_cbranch_execz .LBB10_979
; %bb.978:
	s_wait_dscnt 0x0
	v_cmp_lt_f32_e32 vcc_lo, v3, v5
                                        ; implicit-def: $vgpr11
                                        ; implicit-def: $vgpr8
	v_cndmask_b32_e32 v5, v3, v5, vcc_lo
	v_cmp_lt_f32_e32 vcc_lo, v4, v2
	v_cndmask_b32_e32 v4, v2, v4, vcc_lo
                                        ; implicit-def: $vgpr2_vgpr3
.LBB10_979:
	s_or_saveexec_b32 s4, s4
	v_mov_b32_e32 v6, 1
	s_xor_b32 exec_lo, exec_lo, s4
	s_cbranch_execz .LBB10_983
; %bb.980:
	v_and_b32_e32 v6, 1, v8
	s_mov_b32 s5, exec_lo
	s_delay_alu instid0(VALU_DEP_1)
	v_cmpx_eq_u32_e32 1, v6
	s_cbranch_execz .LBB10_982
; %bb.981:
	s_wait_dscnt 0x0
	v_mov_b64_e32 v[4:5], v[2:3]
	v_mov_b32_e32 v11, 1
.LBB10_982:
	s_or_b32 exec_lo, exec_lo, s5
	s_delay_alu instid0(VALU_DEP_1)
	v_mov_b32_e32 v6, v11
.LBB10_983:
	s_or_b32 exec_lo, exec_lo, s4
	s_wait_dscnt 0x0
	s_delay_alu instid0(VALU_DEP_3) | instskip(NEXT) | instid1(VALU_DEP_2)
	v_mov_b64_e32 v[2:3], v[4:5]
	v_and_b32_e32 v6, 0xff, v6
	v_dual_mov_b32 v9, v4 :: v_dual_mov_b32 v10, v5
.LBB10_984:
	s_or_b32 exec_lo, exec_lo, s3
	v_cmp_gt_u32_e32 vcc_lo, 30, v1
	s_wait_dscnt 0x2
	v_add_nc_u32_e32 v11, 2, v1
	s_mov_b32 s3, exec_lo
	s_wait_dscnt 0x1
	v_cndmask_b32_e64 v4, 0, 2, vcc_lo
	s_wait_dscnt 0x0
	s_delay_alu instid0(VALU_DEP_1)
	v_add_lshl_u32 v5, v4, v1, 2
	ds_bpermute_b32 v8, v5, v6
	ds_bpermute_b32 v4, v5, v9
	;; [unrolled: 1-line block ×3, first 2 shown]
	v_cmpx_lt_u32_e64 v11, v7
	s_cbranch_execz .LBB10_992
; %bb.985:
	s_wait_dscnt 0x2
	v_and_b32_e32 v9, v6, v8
	s_mov_b32 s4, exec_lo
	s_delay_alu instid0(VALU_DEP_1) | instskip(NEXT) | instid1(VALU_DEP_1)
	v_and_b32_e32 v9, 1, v9
	v_cmpx_eq_u32_e32 1, v9
	s_xor_b32 s4, exec_lo, s4
	s_cbranch_execz .LBB10_987
; %bb.986:
	s_wait_dscnt 0x0
	v_cmp_lt_f32_e32 vcc_lo, v3, v5
                                        ; implicit-def: $vgpr8
                                        ; implicit-def: $vgpr6
	v_cndmask_b32_e32 v5, v3, v5, vcc_lo
	v_cmp_lt_f32_e32 vcc_lo, v4, v2
	v_cndmask_b32_e32 v4, v2, v4, vcc_lo
                                        ; implicit-def: $vgpr2_vgpr3
.LBB10_987:
	s_or_saveexec_b32 s4, s4
	v_mov_b32_e32 v9, 1
	s_xor_b32 exec_lo, exec_lo, s4
	s_cbranch_execz .LBB10_991
; %bb.988:
	v_and_b32_e32 v6, 1, v6
	s_mov_b32 s5, exec_lo
	s_delay_alu instid0(VALU_DEP_1)
	v_cmpx_eq_u32_e32 1, v6
	s_cbranch_execz .LBB10_990
; %bb.989:
	s_wait_dscnt 0x0
	v_mov_b64_e32 v[4:5], v[2:3]
	v_mov_b32_e32 v8, 1
.LBB10_990:
	s_or_b32 exec_lo, exec_lo, s5
	s_delay_alu instid0(VALU_DEP_1)
	v_mov_b32_e32 v9, v8
.LBB10_991:
	s_or_b32 exec_lo, exec_lo, s4
	s_wait_dscnt 0x0
	s_delay_alu instid0(VALU_DEP_3) | instskip(NEXT) | instid1(VALU_DEP_2)
	v_mov_b64_e32 v[2:3], v[4:5]
	v_and_b32_e32 v6, 0xff, v9
	v_dual_mov_b32 v9, v4 :: v_dual_mov_b32 v10, v5
.LBB10_992:
	s_or_b32 exec_lo, exec_lo, s3
	v_cmp_gt_u32_e32 vcc_lo, 28, v1
	v_add_nc_u32_e32 v11, 4, v1
	s_mov_b32 s3, exec_lo
	s_wait_dscnt 0x1
	v_cndmask_b32_e64 v4, 0, 4, vcc_lo
	s_wait_dscnt 0x0
	s_delay_alu instid0(VALU_DEP_1)
	v_add_lshl_u32 v5, v4, v1, 2
	ds_bpermute_b32 v8, v5, v6
	ds_bpermute_b32 v4, v5, v9
	ds_bpermute_b32 v5, v5, v10
	v_cmpx_lt_u32_e64 v11, v7
	s_cbranch_execz .LBB10_1000
; %bb.993:
	s_wait_dscnt 0x2
	v_and_b32_e32 v9, v6, v8
	s_mov_b32 s4, exec_lo
	s_delay_alu instid0(VALU_DEP_1) | instskip(NEXT) | instid1(VALU_DEP_1)
	v_and_b32_e32 v9, 1, v9
	v_cmpx_eq_u32_e32 1, v9
	s_xor_b32 s4, exec_lo, s4
	s_cbranch_execz .LBB10_995
; %bb.994:
	s_wait_dscnt 0x1
	v_cmp_gt_f32_e32 vcc_lo, v2, v4
                                        ; implicit-def: $vgpr8
                                        ; implicit-def: $vgpr6
	v_cndmask_b32_e32 v4, v2, v4, vcc_lo
	s_wait_dscnt 0x0
	v_cmp_lt_f32_e32 vcc_lo, v3, v5
	v_cndmask_b32_e32 v5, v3, v5, vcc_lo
                                        ; implicit-def: $vgpr2_vgpr3
.LBB10_995:
	s_or_saveexec_b32 s4, s4
	v_mov_b32_e32 v9, 1
	s_xor_b32 exec_lo, exec_lo, s4
	s_cbranch_execz .LBB10_999
; %bb.996:
	v_and_b32_e32 v6, 1, v6
	s_mov_b32 s5, exec_lo
	s_delay_alu instid0(VALU_DEP_1)
	v_cmpx_eq_u32_e32 1, v6
	s_cbranch_execz .LBB10_998
; %bb.997:
	s_wait_dscnt 0x0
	v_mov_b64_e32 v[4:5], v[2:3]
	v_mov_b32_e32 v8, 1
.LBB10_998:
	s_or_b32 exec_lo, exec_lo, s5
	s_delay_alu instid0(VALU_DEP_1)
	v_mov_b32_e32 v9, v8
.LBB10_999:
	s_or_b32 exec_lo, exec_lo, s4
	s_wait_dscnt 0x0
	s_delay_alu instid0(VALU_DEP_3) | instskip(NEXT) | instid1(VALU_DEP_2)
	v_mov_b64_e32 v[2:3], v[4:5]
	v_and_b32_e32 v6, 0xff, v9
	v_dual_mov_b32 v9, v4 :: v_dual_mov_b32 v10, v5
.LBB10_1000:
	s_or_b32 exec_lo, exec_lo, s3
	v_cmp_gt_u32_e32 vcc_lo, 24, v1
	v_add_nc_u32_e32 v11, 8, v1
	s_mov_b32 s3, exec_lo
	s_wait_dscnt 0x1
	v_cndmask_b32_e64 v4, 0, 8, vcc_lo
	s_wait_dscnt 0x0
	s_delay_alu instid0(VALU_DEP_1)
	v_add_lshl_u32 v5, v4, v1, 2
	ds_bpermute_b32 v8, v5, v6
	ds_bpermute_b32 v4, v5, v9
	;; [unrolled: 1-line block ×3, first 2 shown]
	v_cmpx_lt_u32_e64 v11, v7
	s_cbranch_execz .LBB10_1008
; %bb.1001:
	s_wait_dscnt 0x2
	v_and_b32_e32 v9, v6, v8
	s_mov_b32 s4, exec_lo
	s_delay_alu instid0(VALU_DEP_1) | instskip(NEXT) | instid1(VALU_DEP_1)
	v_and_b32_e32 v9, 1, v9
	v_cmpx_eq_u32_e32 1, v9
	s_xor_b32 s4, exec_lo, s4
	s_cbranch_execz .LBB10_1003
; %bb.1002:
	s_wait_dscnt 0x0
	v_cmp_gt_f32_e32 vcc_lo, v5, v3
                                        ; implicit-def: $vgpr8
                                        ; implicit-def: $vgpr6
	v_cndmask_b32_e32 v5, v3, v5, vcc_lo
	v_cmp_gt_f32_e32 vcc_lo, v2, v4
	v_cndmask_b32_e32 v4, v2, v4, vcc_lo
                                        ; implicit-def: $vgpr2_vgpr3
.LBB10_1003:
	s_or_saveexec_b32 s4, s4
	v_mov_b32_e32 v9, 1
	s_xor_b32 exec_lo, exec_lo, s4
	s_cbranch_execz .LBB10_1007
; %bb.1004:
	v_and_b32_e32 v6, 1, v6
	s_mov_b32 s5, exec_lo
	s_delay_alu instid0(VALU_DEP_1)
	v_cmpx_eq_u32_e32 1, v6
	s_cbranch_execz .LBB10_1006
; %bb.1005:
	s_wait_dscnt 0x0
	v_mov_b64_e32 v[4:5], v[2:3]
	v_mov_b32_e32 v8, 1
.LBB10_1006:
	s_or_b32 exec_lo, exec_lo, s5
	s_delay_alu instid0(VALU_DEP_1)
	v_mov_b32_e32 v9, v8
.LBB10_1007:
	s_or_b32 exec_lo, exec_lo, s4
	s_wait_dscnt 0x0
	s_delay_alu instid0(VALU_DEP_3) | instskip(NEXT) | instid1(VALU_DEP_2)
	v_mov_b64_e32 v[2:3], v[4:5]
	v_and_b32_e32 v6, 0xff, v9
	v_dual_mov_b32 v9, v4 :: v_dual_mov_b32 v10, v5
.LBB10_1008:
	s_or_b32 exec_lo, exec_lo, s3
	s_wait_dscnt 0x2
	v_lshlrev_b32_e32 v8, 2, v1
	s_wait_dscnt 0x0
	s_delay_alu instid0(VALU_DEP_1) | instskip(SKIP_2) | instid1(VALU_DEP_1)
	v_or_b32_e32 v5, 64, v8
	ds_bpermute_b32 v4, v5, v9
	v_add_nc_u32_e32 v9, 16, v1
	v_cmp_lt_u32_e32 vcc_lo, v9, v7
	v_mov_b32_e32 v7, v6
	ds_bpermute_b32 v11, v5, v6
	ds_bpermute_b32 v5, v5, v10
	s_and_saveexec_b32 s3, vcc_lo
	s_cbranch_execz .LBB10_1016
; %bb.1009:
	s_wait_dscnt 0x1
	v_and_b32_e32 v7, v6, v11
	s_mov_b32 s4, exec_lo
	s_delay_alu instid0(VALU_DEP_1) | instskip(NEXT) | instid1(VALU_DEP_1)
	v_and_b32_e32 v7, 1, v7
	v_cmpx_eq_u32_e32 1, v7
	s_xor_b32 s4, exec_lo, s4
	s_cbranch_execz .LBB10_1011
; %bb.1010:
	s_wait_dscnt 0x0
	v_cmp_gt_f32_e32 vcc_lo, v5, v3
                                        ; implicit-def: $vgpr11
                                        ; implicit-def: $vgpr6
	v_cndmask_b32_e32 v5, v3, v5, vcc_lo
	v_cmp_gt_f32_e32 vcc_lo, v2, v4
	v_cndmask_b32_e32 v4, v2, v4, vcc_lo
                                        ; implicit-def: $vgpr2_vgpr3
.LBB10_1011:
	s_or_saveexec_b32 s4, s4
	v_mov_b32_e32 v7, 1
	s_xor_b32 exec_lo, exec_lo, s4
	s_cbranch_execz .LBB10_1015
; %bb.1012:
	v_and_b32_e32 v6, 1, v6
	s_mov_b32 s5, exec_lo
	s_delay_alu instid0(VALU_DEP_1)
	v_cmpx_eq_u32_e32 1, v6
	s_cbranch_execz .LBB10_1014
; %bb.1013:
	s_wait_dscnt 0x0
	v_mov_b64_e32 v[4:5], v[2:3]
	v_mov_b32_e32 v11, 1
.LBB10_1014:
	s_or_b32 exec_lo, exec_lo, s5
	s_delay_alu instid0(VALU_DEP_1)
	v_mov_b32_e32 v7, v11
.LBB10_1015:
	s_or_b32 exec_lo, exec_lo, s4
	s_wait_dscnt 0x0
	s_delay_alu instid0(VALU_DEP_3) | instskip(NEXT) | instid1(VALU_DEP_2)
	v_mov_b64_e32 v[2:3], v[4:5]
	v_and_b32_e32 v6, 0xff, v7
.LBB10_1016:
	s_or_b32 exec_lo, exec_lo, s3
	s_delay_alu instid0(SALU_CYCLE_1)
	s_mov_b32 s3, exec_lo
	v_cmpx_eq_u32_e32 0, v1
	s_cbranch_execz .LBB10_1018
; %bb.1017:
	s_wait_dscnt 0x2
	v_lshrrev_b32_e32 v4, 5, v0
	s_delay_alu instid0(VALU_DEP_1)
	v_mul_u32_u24_e32 v4, 12, v4
	ds_store_b8 v4, v7
	ds_store_2addr_b32 v4, v2, v3 offset0:1 offset1:2
.LBB10_1018:
	s_or_b32 exec_lo, exec_lo, s3
	s_delay_alu instid0(SALU_CYCLE_1)
	s_mov_b32 s3, exec_lo
	s_wait_dscnt 0x0
	s_barrier_signal -1
	s_barrier_wait -1
	v_cmpx_gt_u32_e32 4, v0
	s_cbranch_execz .LBB10_1036
; %bb.1019:
	v_mul_u32_u24_e32 v2, 12, v1
	v_and_b32_e32 v7, 3, v1
	s_add_co_i32 s2, s2, 31
	ds_load_u8 v9, v2
	ds_load_2addr_b32 v[2:3], v2 offset0:1 offset1:2
	v_cmp_ne_u32_e32 vcc_lo, 3, v7
	s_lshr_b32 s2, s2, 5
	v_add_co_ci_u32_e64 v1, null, 0, v1, vcc_lo
	s_delay_alu instid0(VALU_DEP_1)
	v_dual_lshlrev_b32 v5, 2, v1 :: v_dual_add_nc_u32 v10, 1, v7
	s_wait_dscnt 0x1
	v_and_b32_e32 v6, 0xff, v9
	s_wait_dscnt 0x0
	ds_bpermute_b32 v4, v5, v2
	v_mov_b32_e32 v11, v3
	v_cmp_gt_u32_e32 vcc_lo, s2, v10
	v_mov_b32_e32 v10, v2
	ds_bpermute_b32 v1, v5, v6
	ds_bpermute_b32 v5, v5, v3
	s_and_saveexec_b32 s4, vcc_lo
	s_cbranch_execz .LBB10_1027
; %bb.1020:
	s_wait_dscnt 0x1
	v_and_b32_e32 v6, v6, v1
	s_mov_b32 s5, exec_lo
	s_delay_alu instid0(VALU_DEP_1) | instskip(NEXT) | instid1(VALU_DEP_1)
	v_and_b32_e32 v6, 1, v6
	v_cmpx_eq_u32_e32 1, v6
	s_xor_b32 s5, exec_lo, s5
	s_cbranch_execz .LBB10_1022
; %bb.1021:
	s_wait_dscnt 0x0
	v_cmp_gt_f32_e32 vcc_lo, v5, v3
                                        ; implicit-def: $vgpr1
                                        ; implicit-def: $vgpr9
	v_cndmask_b32_e32 v5, v3, v5, vcc_lo
	v_cmp_gt_f32_e32 vcc_lo, v2, v4
	v_cndmask_b32_e32 v4, v2, v4, vcc_lo
                                        ; implicit-def: $vgpr2_vgpr3
.LBB10_1022:
	s_or_saveexec_b32 s5, s5
	v_mov_b32_e32 v6, 1
	s_xor_b32 exec_lo, exec_lo, s5
	s_cbranch_execz .LBB10_1026
; %bb.1023:
	v_and_b32_e32 v6, 1, v9
	s_mov_b32 s6, exec_lo
	s_delay_alu instid0(VALU_DEP_1)
	v_cmpx_eq_u32_e32 1, v6
	s_cbranch_execz .LBB10_1025
; %bb.1024:
	s_wait_dscnt 0x0
	v_mov_b64_e32 v[4:5], v[2:3]
	v_mov_b32_e32 v1, 1
.LBB10_1025:
	s_or_b32 exec_lo, exec_lo, s6
	s_delay_alu instid0(VALU_DEP_1)
	v_mov_b32_e32 v6, v1
.LBB10_1026:
	s_or_b32 exec_lo, exec_lo, s5
	s_wait_dscnt 0x0
	s_delay_alu instid0(VALU_DEP_3) | instskip(NEXT) | instid1(VALU_DEP_2)
	v_mov_b64_e32 v[2:3], v[4:5]
	v_and_b32_e32 v6, 0xff, v6
	v_dual_mov_b32 v10, v4 :: v_dual_mov_b32 v11, v5
.LBB10_1027:
	s_or_b32 exec_lo, exec_lo, s4
	s_wait_dscnt 0x0
	v_dual_add_nc_u32 v7, 2, v7 :: v_dual_bitop2_b32 v5, 8, v8 bitop3:0x54
	ds_bpermute_b32 v1, v5, v6
	ds_bpermute_b32 v4, v5, v10
	;; [unrolled: 1-line block ×3, first 2 shown]
	v_cmp_gt_u32_e32 vcc_lo, s2, v7
	s_and_saveexec_b32 s2, vcc_lo
	s_cbranch_execz .LBB10_1035
; %bb.1028:
	s_wait_dscnt 0x2
	v_and_b32_e32 v7, v6, v1
	s_mov_b32 s4, exec_lo
	s_delay_alu instid0(VALU_DEP_1) | instskip(NEXT) | instid1(VALU_DEP_1)
	v_and_b32_e32 v7, 1, v7
	v_cmpx_eq_u32_e32 1, v7
	s_xor_b32 s4, exec_lo, s4
	s_cbranch_execz .LBB10_1030
; %bb.1029:
	s_wait_dscnt 0x0
	v_cmp_gt_f32_e32 vcc_lo, v5, v3
                                        ; implicit-def: $vgpr1
                                        ; implicit-def: $vgpr6
	v_cndmask_b32_e32 v5, v3, v5, vcc_lo
	v_cmp_gt_f32_e32 vcc_lo, v2, v4
	v_cndmask_b32_e32 v4, v2, v4, vcc_lo
                                        ; implicit-def: $vgpr2_vgpr3
.LBB10_1030:
	s_or_saveexec_b32 s4, s4
	v_mov_b32_e32 v7, 1
	s_xor_b32 exec_lo, exec_lo, s4
	s_cbranch_execz .LBB10_1034
; %bb.1031:
	v_and_b32_e32 v6, 1, v6
	s_mov_b32 s5, exec_lo
	s_delay_alu instid0(VALU_DEP_1)
	v_cmpx_eq_u32_e32 1, v6
	s_cbranch_execz .LBB10_1033
; %bb.1032:
	s_wait_dscnt 0x0
	v_mov_b64_e32 v[4:5], v[2:3]
	v_mov_b32_e32 v1, 1
.LBB10_1033:
	s_or_b32 exec_lo, exec_lo, s5
	s_delay_alu instid0(VALU_DEP_1)
	v_mov_b32_e32 v7, v1
.LBB10_1034:
	s_or_b32 exec_lo, exec_lo, s4
	s_wait_dscnt 0x0
	s_delay_alu instid0(VALU_DEP_3) | instskip(NEXT) | instid1(VALU_DEP_2)
	v_mov_b64_e32 v[2:3], v[4:5]
	v_mov_b32_e32 v6, v7
.LBB10_1035:
	s_or_b32 exec_lo, exec_lo, s2
.LBB10_1036:
	s_delay_alu instid0(SALU_CYCLE_1)
	s_or_b32 exec_lo, exec_lo, s3
.LBB10_1037:
	s_delay_alu instid0(SALU_CYCLE_1)
	s_mov_b32 s2, exec_lo
                                        ; implicit-def: $vgpr4_vgpr5
                                        ; implicit-def: $vgpr7
	v_cmpx_eq_u32_e32 0, v0
	s_cbranch_execz .LBB10_1045
; %bb.1038:
	s_wait_dscnt 0x0
	v_mov_b64_e32 v[4:5], s[18:19]
	v_mov_b32_e32 v7, s17
	s_cmp_eq_u64 s[22:23], 0
	s_cbranch_scc1 .LBB10_1044
; %bb.1039:
	v_and_b32_e32 v0, 1, v6
	s_bitcmp1_b32 s17, 0
                                        ; implicit-def: $vgpr4_vgpr5
                                        ; implicit-def: $vgpr7
	s_cselect_b32 s4, -1, 0
	s_delay_alu instid0(VALU_DEP_1) | instskip(SKIP_1) | instid1(SALU_CYCLE_1)
	v_cmp_eq_u32_e32 vcc_lo, 1, v0
	s_and_b32 s3, s4, vcc_lo
	s_xor_b32 s3, s3, -1
	s_delay_alu instid0(SALU_CYCLE_1) | instskip(NEXT) | instid1(SALU_CYCLE_1)
	s_and_saveexec_b32 s5, s3
	s_xor_b32 s3, exec_lo, s5
; %bb.1040:
	v_cndmask_b32_e64 v7, v6, 1, s4
	v_cndmask_b32_e64 v5, v3, s19, s4
	;; [unrolled: 1-line block ×3, first 2 shown]
                                        ; implicit-def: $vgpr2_vgpr3
; %bb.1041:
	s_and_not1_saveexec_b32 s3, s3
; %bb.1042:
	v_cmp_lt_f32_e32 vcc_lo, s19, v3
	v_dual_mov_b32 v7, 1 :: v_dual_cndmask_b32 v5, s19, v3, vcc_lo
	v_cmp_gt_f32_e32 vcc_lo, s18, v2
	v_cndmask_b32_e32 v4, s18, v2, vcc_lo
; %bb.1043:
	s_or_b32 exec_lo, exec_lo, s3
.LBB10_1044:
	s_delay_alu instid0(SALU_CYCLE_1)
	s_or_b32 s9, s9, exec_lo
.LBB10_1045:
	s_or_b32 exec_lo, exec_lo, s2
	s_and_saveexec_b32 s2, s9
	s_cbranch_execnz .LBB10_971
	s_branch .LBB10_972
	.section	.rodata,"a",@progbits
	.p2align	6, 0x0
	.amdhsa_kernel _ZN7rocprim17ROCPRIM_400000_NS6detail17trampoline_kernelINS0_14default_configENS1_22reduce_config_selectorIN6thrust23THRUST_200600_302600_NS5tupleIbffNS6_9null_typeES8_S8_S8_S8_S8_S8_EEEEZNS1_11reduce_implILb1ES3_PS9_SC_S9_12reduce_tupleIifEEE10hipError_tPvRmT1_T2_T3_mT4_P12ihipStream_tbEUlT_E1_NS1_11comp_targetILNS1_3genE0ELNS1_11target_archE4294967295ELNS1_3gpuE0ELNS1_3repE0EEENS1_30default_config_static_selectorELNS0_4arch9wavefront6targetE0EEEvSI_
		.amdhsa_group_segment_fixed_size 288
		.amdhsa_private_segment_fixed_size 0
		.amdhsa_kernarg_size 48
		.amdhsa_user_sgpr_count 2
		.amdhsa_user_sgpr_dispatch_ptr 0
		.amdhsa_user_sgpr_queue_ptr 0
		.amdhsa_user_sgpr_kernarg_segment_ptr 1
		.amdhsa_user_sgpr_dispatch_id 0
		.amdhsa_user_sgpr_kernarg_preload_length 0
		.amdhsa_user_sgpr_kernarg_preload_offset 0
		.amdhsa_user_sgpr_private_segment_size 0
		.amdhsa_wavefront_size32 1
		.amdhsa_uses_dynamic_stack 0
		.amdhsa_enable_private_segment 0
		.amdhsa_system_sgpr_workgroup_id_x 1
		.amdhsa_system_sgpr_workgroup_id_y 0
		.amdhsa_system_sgpr_workgroup_id_z 0
		.amdhsa_system_sgpr_workgroup_info 0
		.amdhsa_system_vgpr_workitem_id 0
		.amdhsa_next_free_vgpr 52
		.amdhsa_next_free_sgpr 31
		.amdhsa_named_barrier_count 0
		.amdhsa_reserve_vcc 1
		.amdhsa_float_round_mode_32 0
		.amdhsa_float_round_mode_16_64 0
		.amdhsa_float_denorm_mode_32 3
		.amdhsa_float_denorm_mode_16_64 3
		.amdhsa_fp16_overflow 0
		.amdhsa_memory_ordered 1
		.amdhsa_forward_progress 1
		.amdhsa_inst_pref_size 208
		.amdhsa_round_robin_scheduling 0
		.amdhsa_exception_fp_ieee_invalid_op 0
		.amdhsa_exception_fp_denorm_src 0
		.amdhsa_exception_fp_ieee_div_zero 0
		.amdhsa_exception_fp_ieee_overflow 0
		.amdhsa_exception_fp_ieee_underflow 0
		.amdhsa_exception_fp_ieee_inexact 0
		.amdhsa_exception_int_div_zero 0
	.end_amdhsa_kernel
	.section	.text._ZN7rocprim17ROCPRIM_400000_NS6detail17trampoline_kernelINS0_14default_configENS1_22reduce_config_selectorIN6thrust23THRUST_200600_302600_NS5tupleIbffNS6_9null_typeES8_S8_S8_S8_S8_S8_EEEEZNS1_11reduce_implILb1ES3_PS9_SC_S9_12reduce_tupleIifEEE10hipError_tPvRmT1_T2_T3_mT4_P12ihipStream_tbEUlT_E1_NS1_11comp_targetILNS1_3genE0ELNS1_11target_archE4294967295ELNS1_3gpuE0ELNS1_3repE0EEENS1_30default_config_static_selectorELNS0_4arch9wavefront6targetE0EEEvSI_,"axG",@progbits,_ZN7rocprim17ROCPRIM_400000_NS6detail17trampoline_kernelINS0_14default_configENS1_22reduce_config_selectorIN6thrust23THRUST_200600_302600_NS5tupleIbffNS6_9null_typeES8_S8_S8_S8_S8_S8_EEEEZNS1_11reduce_implILb1ES3_PS9_SC_S9_12reduce_tupleIifEEE10hipError_tPvRmT1_T2_T3_mT4_P12ihipStream_tbEUlT_E1_NS1_11comp_targetILNS1_3genE0ELNS1_11target_archE4294967295ELNS1_3gpuE0ELNS1_3repE0EEENS1_30default_config_static_selectorELNS0_4arch9wavefront6targetE0EEEvSI_,comdat
.Lfunc_end10:
	.size	_ZN7rocprim17ROCPRIM_400000_NS6detail17trampoline_kernelINS0_14default_configENS1_22reduce_config_selectorIN6thrust23THRUST_200600_302600_NS5tupleIbffNS6_9null_typeES8_S8_S8_S8_S8_S8_EEEEZNS1_11reduce_implILb1ES3_PS9_SC_S9_12reduce_tupleIifEEE10hipError_tPvRmT1_T2_T3_mT4_P12ihipStream_tbEUlT_E1_NS1_11comp_targetILNS1_3genE0ELNS1_11target_archE4294967295ELNS1_3gpuE0ELNS1_3repE0EEENS1_30default_config_static_selectorELNS0_4arch9wavefront6targetE0EEEvSI_, .Lfunc_end10-_ZN7rocprim17ROCPRIM_400000_NS6detail17trampoline_kernelINS0_14default_configENS1_22reduce_config_selectorIN6thrust23THRUST_200600_302600_NS5tupleIbffNS6_9null_typeES8_S8_S8_S8_S8_S8_EEEEZNS1_11reduce_implILb1ES3_PS9_SC_S9_12reduce_tupleIifEEE10hipError_tPvRmT1_T2_T3_mT4_P12ihipStream_tbEUlT_E1_NS1_11comp_targetILNS1_3genE0ELNS1_11target_archE4294967295ELNS1_3gpuE0ELNS1_3repE0EEENS1_30default_config_static_selectorELNS0_4arch9wavefront6targetE0EEEvSI_
                                        ; -- End function
	.set _ZN7rocprim17ROCPRIM_400000_NS6detail17trampoline_kernelINS0_14default_configENS1_22reduce_config_selectorIN6thrust23THRUST_200600_302600_NS5tupleIbffNS6_9null_typeES8_S8_S8_S8_S8_S8_EEEEZNS1_11reduce_implILb1ES3_PS9_SC_S9_12reduce_tupleIifEEE10hipError_tPvRmT1_T2_T3_mT4_P12ihipStream_tbEUlT_E1_NS1_11comp_targetILNS1_3genE0ELNS1_11target_archE4294967295ELNS1_3gpuE0ELNS1_3repE0EEENS1_30default_config_static_selectorELNS0_4arch9wavefront6targetE0EEEvSI_.num_vgpr, 52
	.set _ZN7rocprim17ROCPRIM_400000_NS6detail17trampoline_kernelINS0_14default_configENS1_22reduce_config_selectorIN6thrust23THRUST_200600_302600_NS5tupleIbffNS6_9null_typeES8_S8_S8_S8_S8_S8_EEEEZNS1_11reduce_implILb1ES3_PS9_SC_S9_12reduce_tupleIifEEE10hipError_tPvRmT1_T2_T3_mT4_P12ihipStream_tbEUlT_E1_NS1_11comp_targetILNS1_3genE0ELNS1_11target_archE4294967295ELNS1_3gpuE0ELNS1_3repE0EEENS1_30default_config_static_selectorELNS0_4arch9wavefront6targetE0EEEvSI_.num_agpr, 0
	.set _ZN7rocprim17ROCPRIM_400000_NS6detail17trampoline_kernelINS0_14default_configENS1_22reduce_config_selectorIN6thrust23THRUST_200600_302600_NS5tupleIbffNS6_9null_typeES8_S8_S8_S8_S8_S8_EEEEZNS1_11reduce_implILb1ES3_PS9_SC_S9_12reduce_tupleIifEEE10hipError_tPvRmT1_T2_T3_mT4_P12ihipStream_tbEUlT_E1_NS1_11comp_targetILNS1_3genE0ELNS1_11target_archE4294967295ELNS1_3gpuE0ELNS1_3repE0EEENS1_30default_config_static_selectorELNS0_4arch9wavefront6targetE0EEEvSI_.numbered_sgpr, 31
	.set _ZN7rocprim17ROCPRIM_400000_NS6detail17trampoline_kernelINS0_14default_configENS1_22reduce_config_selectorIN6thrust23THRUST_200600_302600_NS5tupleIbffNS6_9null_typeES8_S8_S8_S8_S8_S8_EEEEZNS1_11reduce_implILb1ES3_PS9_SC_S9_12reduce_tupleIifEEE10hipError_tPvRmT1_T2_T3_mT4_P12ihipStream_tbEUlT_E1_NS1_11comp_targetILNS1_3genE0ELNS1_11target_archE4294967295ELNS1_3gpuE0ELNS1_3repE0EEENS1_30default_config_static_selectorELNS0_4arch9wavefront6targetE0EEEvSI_.num_named_barrier, 0
	.set _ZN7rocprim17ROCPRIM_400000_NS6detail17trampoline_kernelINS0_14default_configENS1_22reduce_config_selectorIN6thrust23THRUST_200600_302600_NS5tupleIbffNS6_9null_typeES8_S8_S8_S8_S8_S8_EEEEZNS1_11reduce_implILb1ES3_PS9_SC_S9_12reduce_tupleIifEEE10hipError_tPvRmT1_T2_T3_mT4_P12ihipStream_tbEUlT_E1_NS1_11comp_targetILNS1_3genE0ELNS1_11target_archE4294967295ELNS1_3gpuE0ELNS1_3repE0EEENS1_30default_config_static_selectorELNS0_4arch9wavefront6targetE0EEEvSI_.private_seg_size, 0
	.set _ZN7rocprim17ROCPRIM_400000_NS6detail17trampoline_kernelINS0_14default_configENS1_22reduce_config_selectorIN6thrust23THRUST_200600_302600_NS5tupleIbffNS6_9null_typeES8_S8_S8_S8_S8_S8_EEEEZNS1_11reduce_implILb1ES3_PS9_SC_S9_12reduce_tupleIifEEE10hipError_tPvRmT1_T2_T3_mT4_P12ihipStream_tbEUlT_E1_NS1_11comp_targetILNS1_3genE0ELNS1_11target_archE4294967295ELNS1_3gpuE0ELNS1_3repE0EEENS1_30default_config_static_selectorELNS0_4arch9wavefront6targetE0EEEvSI_.uses_vcc, 1
	.set _ZN7rocprim17ROCPRIM_400000_NS6detail17trampoline_kernelINS0_14default_configENS1_22reduce_config_selectorIN6thrust23THRUST_200600_302600_NS5tupleIbffNS6_9null_typeES8_S8_S8_S8_S8_S8_EEEEZNS1_11reduce_implILb1ES3_PS9_SC_S9_12reduce_tupleIifEEE10hipError_tPvRmT1_T2_T3_mT4_P12ihipStream_tbEUlT_E1_NS1_11comp_targetILNS1_3genE0ELNS1_11target_archE4294967295ELNS1_3gpuE0ELNS1_3repE0EEENS1_30default_config_static_selectorELNS0_4arch9wavefront6targetE0EEEvSI_.uses_flat_scratch, 0
	.set _ZN7rocprim17ROCPRIM_400000_NS6detail17trampoline_kernelINS0_14default_configENS1_22reduce_config_selectorIN6thrust23THRUST_200600_302600_NS5tupleIbffNS6_9null_typeES8_S8_S8_S8_S8_S8_EEEEZNS1_11reduce_implILb1ES3_PS9_SC_S9_12reduce_tupleIifEEE10hipError_tPvRmT1_T2_T3_mT4_P12ihipStream_tbEUlT_E1_NS1_11comp_targetILNS1_3genE0ELNS1_11target_archE4294967295ELNS1_3gpuE0ELNS1_3repE0EEENS1_30default_config_static_selectorELNS0_4arch9wavefront6targetE0EEEvSI_.has_dyn_sized_stack, 0
	.set _ZN7rocprim17ROCPRIM_400000_NS6detail17trampoline_kernelINS0_14default_configENS1_22reduce_config_selectorIN6thrust23THRUST_200600_302600_NS5tupleIbffNS6_9null_typeES8_S8_S8_S8_S8_S8_EEEEZNS1_11reduce_implILb1ES3_PS9_SC_S9_12reduce_tupleIifEEE10hipError_tPvRmT1_T2_T3_mT4_P12ihipStream_tbEUlT_E1_NS1_11comp_targetILNS1_3genE0ELNS1_11target_archE4294967295ELNS1_3gpuE0ELNS1_3repE0EEENS1_30default_config_static_selectorELNS0_4arch9wavefront6targetE0EEEvSI_.has_recursion, 0
	.set _ZN7rocprim17ROCPRIM_400000_NS6detail17trampoline_kernelINS0_14default_configENS1_22reduce_config_selectorIN6thrust23THRUST_200600_302600_NS5tupleIbffNS6_9null_typeES8_S8_S8_S8_S8_S8_EEEEZNS1_11reduce_implILb1ES3_PS9_SC_S9_12reduce_tupleIifEEE10hipError_tPvRmT1_T2_T3_mT4_P12ihipStream_tbEUlT_E1_NS1_11comp_targetILNS1_3genE0ELNS1_11target_archE4294967295ELNS1_3gpuE0ELNS1_3repE0EEENS1_30default_config_static_selectorELNS0_4arch9wavefront6targetE0EEEvSI_.has_indirect_call, 0
	.section	.AMDGPU.csdata,"",@progbits
; Kernel info:
; codeLenInByte = 26520
; TotalNumSgprs: 33
; NumVgprs: 52
; ScratchSize: 0
; MemoryBound: 0
; FloatMode: 240
; IeeeMode: 1
; LDSByteSize: 288 bytes/workgroup (compile time only)
; SGPRBlocks: 0
; VGPRBlocks: 3
; NumSGPRsForWavesPerEU: 33
; NumVGPRsForWavesPerEU: 52
; NamedBarCnt: 0
; Occupancy: 16
; WaveLimiterHint : 1
; COMPUTE_PGM_RSRC2:SCRATCH_EN: 0
; COMPUTE_PGM_RSRC2:USER_SGPR: 2
; COMPUTE_PGM_RSRC2:TRAP_HANDLER: 0
; COMPUTE_PGM_RSRC2:TGID_X_EN: 1
; COMPUTE_PGM_RSRC2:TGID_Y_EN: 0
; COMPUTE_PGM_RSRC2:TGID_Z_EN: 0
; COMPUTE_PGM_RSRC2:TIDIG_COMP_CNT: 0
	.section	.text._ZN7rocprim17ROCPRIM_400000_NS6detail17trampoline_kernelINS0_14default_configENS1_22reduce_config_selectorIN6thrust23THRUST_200600_302600_NS5tupleIbffNS6_9null_typeES8_S8_S8_S8_S8_S8_EEEEZNS1_11reduce_implILb1ES3_PS9_SC_S9_12reduce_tupleIifEEE10hipError_tPvRmT1_T2_T3_mT4_P12ihipStream_tbEUlT_E1_NS1_11comp_targetILNS1_3genE5ELNS1_11target_archE942ELNS1_3gpuE9ELNS1_3repE0EEENS1_30default_config_static_selectorELNS0_4arch9wavefront6targetE0EEEvSI_,"axG",@progbits,_ZN7rocprim17ROCPRIM_400000_NS6detail17trampoline_kernelINS0_14default_configENS1_22reduce_config_selectorIN6thrust23THRUST_200600_302600_NS5tupleIbffNS6_9null_typeES8_S8_S8_S8_S8_S8_EEEEZNS1_11reduce_implILb1ES3_PS9_SC_S9_12reduce_tupleIifEEE10hipError_tPvRmT1_T2_T3_mT4_P12ihipStream_tbEUlT_E1_NS1_11comp_targetILNS1_3genE5ELNS1_11target_archE942ELNS1_3gpuE9ELNS1_3repE0EEENS1_30default_config_static_selectorELNS0_4arch9wavefront6targetE0EEEvSI_,comdat
	.protected	_ZN7rocprim17ROCPRIM_400000_NS6detail17trampoline_kernelINS0_14default_configENS1_22reduce_config_selectorIN6thrust23THRUST_200600_302600_NS5tupleIbffNS6_9null_typeES8_S8_S8_S8_S8_S8_EEEEZNS1_11reduce_implILb1ES3_PS9_SC_S9_12reduce_tupleIifEEE10hipError_tPvRmT1_T2_T3_mT4_P12ihipStream_tbEUlT_E1_NS1_11comp_targetILNS1_3genE5ELNS1_11target_archE942ELNS1_3gpuE9ELNS1_3repE0EEENS1_30default_config_static_selectorELNS0_4arch9wavefront6targetE0EEEvSI_ ; -- Begin function _ZN7rocprim17ROCPRIM_400000_NS6detail17trampoline_kernelINS0_14default_configENS1_22reduce_config_selectorIN6thrust23THRUST_200600_302600_NS5tupleIbffNS6_9null_typeES8_S8_S8_S8_S8_S8_EEEEZNS1_11reduce_implILb1ES3_PS9_SC_S9_12reduce_tupleIifEEE10hipError_tPvRmT1_T2_T3_mT4_P12ihipStream_tbEUlT_E1_NS1_11comp_targetILNS1_3genE5ELNS1_11target_archE942ELNS1_3gpuE9ELNS1_3repE0EEENS1_30default_config_static_selectorELNS0_4arch9wavefront6targetE0EEEvSI_
	.globl	_ZN7rocprim17ROCPRIM_400000_NS6detail17trampoline_kernelINS0_14default_configENS1_22reduce_config_selectorIN6thrust23THRUST_200600_302600_NS5tupleIbffNS6_9null_typeES8_S8_S8_S8_S8_S8_EEEEZNS1_11reduce_implILb1ES3_PS9_SC_S9_12reduce_tupleIifEEE10hipError_tPvRmT1_T2_T3_mT4_P12ihipStream_tbEUlT_E1_NS1_11comp_targetILNS1_3genE5ELNS1_11target_archE942ELNS1_3gpuE9ELNS1_3repE0EEENS1_30default_config_static_selectorELNS0_4arch9wavefront6targetE0EEEvSI_
	.p2align	8
	.type	_ZN7rocprim17ROCPRIM_400000_NS6detail17trampoline_kernelINS0_14default_configENS1_22reduce_config_selectorIN6thrust23THRUST_200600_302600_NS5tupleIbffNS6_9null_typeES8_S8_S8_S8_S8_S8_EEEEZNS1_11reduce_implILb1ES3_PS9_SC_S9_12reduce_tupleIifEEE10hipError_tPvRmT1_T2_T3_mT4_P12ihipStream_tbEUlT_E1_NS1_11comp_targetILNS1_3genE5ELNS1_11target_archE942ELNS1_3gpuE9ELNS1_3repE0EEENS1_30default_config_static_selectorELNS0_4arch9wavefront6targetE0EEEvSI_,@function
_ZN7rocprim17ROCPRIM_400000_NS6detail17trampoline_kernelINS0_14default_configENS1_22reduce_config_selectorIN6thrust23THRUST_200600_302600_NS5tupleIbffNS6_9null_typeES8_S8_S8_S8_S8_S8_EEEEZNS1_11reduce_implILb1ES3_PS9_SC_S9_12reduce_tupleIifEEE10hipError_tPvRmT1_T2_T3_mT4_P12ihipStream_tbEUlT_E1_NS1_11comp_targetILNS1_3genE5ELNS1_11target_archE942ELNS1_3gpuE9ELNS1_3repE0EEENS1_30default_config_static_selectorELNS0_4arch9wavefront6targetE0EEEvSI_: ; @_ZN7rocprim17ROCPRIM_400000_NS6detail17trampoline_kernelINS0_14default_configENS1_22reduce_config_selectorIN6thrust23THRUST_200600_302600_NS5tupleIbffNS6_9null_typeES8_S8_S8_S8_S8_S8_EEEEZNS1_11reduce_implILb1ES3_PS9_SC_S9_12reduce_tupleIifEEE10hipError_tPvRmT1_T2_T3_mT4_P12ihipStream_tbEUlT_E1_NS1_11comp_targetILNS1_3genE5ELNS1_11target_archE942ELNS1_3gpuE9ELNS1_3repE0EEENS1_30default_config_static_selectorELNS0_4arch9wavefront6targetE0EEEvSI_
; %bb.0:
	.section	.rodata,"a",@progbits
	.p2align	6, 0x0
	.amdhsa_kernel _ZN7rocprim17ROCPRIM_400000_NS6detail17trampoline_kernelINS0_14default_configENS1_22reduce_config_selectorIN6thrust23THRUST_200600_302600_NS5tupleIbffNS6_9null_typeES8_S8_S8_S8_S8_S8_EEEEZNS1_11reduce_implILb1ES3_PS9_SC_S9_12reduce_tupleIifEEE10hipError_tPvRmT1_T2_T3_mT4_P12ihipStream_tbEUlT_E1_NS1_11comp_targetILNS1_3genE5ELNS1_11target_archE942ELNS1_3gpuE9ELNS1_3repE0EEENS1_30default_config_static_selectorELNS0_4arch9wavefront6targetE0EEEvSI_
		.amdhsa_group_segment_fixed_size 0
		.amdhsa_private_segment_fixed_size 0
		.amdhsa_kernarg_size 48
		.amdhsa_user_sgpr_count 2
		.amdhsa_user_sgpr_dispatch_ptr 0
		.amdhsa_user_sgpr_queue_ptr 0
		.amdhsa_user_sgpr_kernarg_segment_ptr 1
		.amdhsa_user_sgpr_dispatch_id 0
		.amdhsa_user_sgpr_kernarg_preload_length 0
		.amdhsa_user_sgpr_kernarg_preload_offset 0
		.amdhsa_user_sgpr_private_segment_size 0
		.amdhsa_wavefront_size32 1
		.amdhsa_uses_dynamic_stack 0
		.amdhsa_enable_private_segment 0
		.amdhsa_system_sgpr_workgroup_id_x 1
		.amdhsa_system_sgpr_workgroup_id_y 0
		.amdhsa_system_sgpr_workgroup_id_z 0
		.amdhsa_system_sgpr_workgroup_info 0
		.amdhsa_system_vgpr_workitem_id 0
		.amdhsa_next_free_vgpr 1
		.amdhsa_next_free_sgpr 1
		.amdhsa_named_barrier_count 0
		.amdhsa_reserve_vcc 0
		.amdhsa_float_round_mode_32 0
		.amdhsa_float_round_mode_16_64 0
		.amdhsa_float_denorm_mode_32 3
		.amdhsa_float_denorm_mode_16_64 3
		.amdhsa_fp16_overflow 0
		.amdhsa_memory_ordered 1
		.amdhsa_forward_progress 1
		.amdhsa_inst_pref_size 0
		.amdhsa_round_robin_scheduling 0
		.amdhsa_exception_fp_ieee_invalid_op 0
		.amdhsa_exception_fp_denorm_src 0
		.amdhsa_exception_fp_ieee_div_zero 0
		.amdhsa_exception_fp_ieee_overflow 0
		.amdhsa_exception_fp_ieee_underflow 0
		.amdhsa_exception_fp_ieee_inexact 0
		.amdhsa_exception_int_div_zero 0
	.end_amdhsa_kernel
	.section	.text._ZN7rocprim17ROCPRIM_400000_NS6detail17trampoline_kernelINS0_14default_configENS1_22reduce_config_selectorIN6thrust23THRUST_200600_302600_NS5tupleIbffNS6_9null_typeES8_S8_S8_S8_S8_S8_EEEEZNS1_11reduce_implILb1ES3_PS9_SC_S9_12reduce_tupleIifEEE10hipError_tPvRmT1_T2_T3_mT4_P12ihipStream_tbEUlT_E1_NS1_11comp_targetILNS1_3genE5ELNS1_11target_archE942ELNS1_3gpuE9ELNS1_3repE0EEENS1_30default_config_static_selectorELNS0_4arch9wavefront6targetE0EEEvSI_,"axG",@progbits,_ZN7rocprim17ROCPRIM_400000_NS6detail17trampoline_kernelINS0_14default_configENS1_22reduce_config_selectorIN6thrust23THRUST_200600_302600_NS5tupleIbffNS6_9null_typeES8_S8_S8_S8_S8_S8_EEEEZNS1_11reduce_implILb1ES3_PS9_SC_S9_12reduce_tupleIifEEE10hipError_tPvRmT1_T2_T3_mT4_P12ihipStream_tbEUlT_E1_NS1_11comp_targetILNS1_3genE5ELNS1_11target_archE942ELNS1_3gpuE9ELNS1_3repE0EEENS1_30default_config_static_selectorELNS0_4arch9wavefront6targetE0EEEvSI_,comdat
.Lfunc_end11:
	.size	_ZN7rocprim17ROCPRIM_400000_NS6detail17trampoline_kernelINS0_14default_configENS1_22reduce_config_selectorIN6thrust23THRUST_200600_302600_NS5tupleIbffNS6_9null_typeES8_S8_S8_S8_S8_S8_EEEEZNS1_11reduce_implILb1ES3_PS9_SC_S9_12reduce_tupleIifEEE10hipError_tPvRmT1_T2_T3_mT4_P12ihipStream_tbEUlT_E1_NS1_11comp_targetILNS1_3genE5ELNS1_11target_archE942ELNS1_3gpuE9ELNS1_3repE0EEENS1_30default_config_static_selectorELNS0_4arch9wavefront6targetE0EEEvSI_, .Lfunc_end11-_ZN7rocprim17ROCPRIM_400000_NS6detail17trampoline_kernelINS0_14default_configENS1_22reduce_config_selectorIN6thrust23THRUST_200600_302600_NS5tupleIbffNS6_9null_typeES8_S8_S8_S8_S8_S8_EEEEZNS1_11reduce_implILb1ES3_PS9_SC_S9_12reduce_tupleIifEEE10hipError_tPvRmT1_T2_T3_mT4_P12ihipStream_tbEUlT_E1_NS1_11comp_targetILNS1_3genE5ELNS1_11target_archE942ELNS1_3gpuE9ELNS1_3repE0EEENS1_30default_config_static_selectorELNS0_4arch9wavefront6targetE0EEEvSI_
                                        ; -- End function
	.set _ZN7rocprim17ROCPRIM_400000_NS6detail17trampoline_kernelINS0_14default_configENS1_22reduce_config_selectorIN6thrust23THRUST_200600_302600_NS5tupleIbffNS6_9null_typeES8_S8_S8_S8_S8_S8_EEEEZNS1_11reduce_implILb1ES3_PS9_SC_S9_12reduce_tupleIifEEE10hipError_tPvRmT1_T2_T3_mT4_P12ihipStream_tbEUlT_E1_NS1_11comp_targetILNS1_3genE5ELNS1_11target_archE942ELNS1_3gpuE9ELNS1_3repE0EEENS1_30default_config_static_selectorELNS0_4arch9wavefront6targetE0EEEvSI_.num_vgpr, 0
	.set _ZN7rocprim17ROCPRIM_400000_NS6detail17trampoline_kernelINS0_14default_configENS1_22reduce_config_selectorIN6thrust23THRUST_200600_302600_NS5tupleIbffNS6_9null_typeES8_S8_S8_S8_S8_S8_EEEEZNS1_11reduce_implILb1ES3_PS9_SC_S9_12reduce_tupleIifEEE10hipError_tPvRmT1_T2_T3_mT4_P12ihipStream_tbEUlT_E1_NS1_11comp_targetILNS1_3genE5ELNS1_11target_archE942ELNS1_3gpuE9ELNS1_3repE0EEENS1_30default_config_static_selectorELNS0_4arch9wavefront6targetE0EEEvSI_.num_agpr, 0
	.set _ZN7rocprim17ROCPRIM_400000_NS6detail17trampoline_kernelINS0_14default_configENS1_22reduce_config_selectorIN6thrust23THRUST_200600_302600_NS5tupleIbffNS6_9null_typeES8_S8_S8_S8_S8_S8_EEEEZNS1_11reduce_implILb1ES3_PS9_SC_S9_12reduce_tupleIifEEE10hipError_tPvRmT1_T2_T3_mT4_P12ihipStream_tbEUlT_E1_NS1_11comp_targetILNS1_3genE5ELNS1_11target_archE942ELNS1_3gpuE9ELNS1_3repE0EEENS1_30default_config_static_selectorELNS0_4arch9wavefront6targetE0EEEvSI_.numbered_sgpr, 0
	.set _ZN7rocprim17ROCPRIM_400000_NS6detail17trampoline_kernelINS0_14default_configENS1_22reduce_config_selectorIN6thrust23THRUST_200600_302600_NS5tupleIbffNS6_9null_typeES8_S8_S8_S8_S8_S8_EEEEZNS1_11reduce_implILb1ES3_PS9_SC_S9_12reduce_tupleIifEEE10hipError_tPvRmT1_T2_T3_mT4_P12ihipStream_tbEUlT_E1_NS1_11comp_targetILNS1_3genE5ELNS1_11target_archE942ELNS1_3gpuE9ELNS1_3repE0EEENS1_30default_config_static_selectorELNS0_4arch9wavefront6targetE0EEEvSI_.num_named_barrier, 0
	.set _ZN7rocprim17ROCPRIM_400000_NS6detail17trampoline_kernelINS0_14default_configENS1_22reduce_config_selectorIN6thrust23THRUST_200600_302600_NS5tupleIbffNS6_9null_typeES8_S8_S8_S8_S8_S8_EEEEZNS1_11reduce_implILb1ES3_PS9_SC_S9_12reduce_tupleIifEEE10hipError_tPvRmT1_T2_T3_mT4_P12ihipStream_tbEUlT_E1_NS1_11comp_targetILNS1_3genE5ELNS1_11target_archE942ELNS1_3gpuE9ELNS1_3repE0EEENS1_30default_config_static_selectorELNS0_4arch9wavefront6targetE0EEEvSI_.private_seg_size, 0
	.set _ZN7rocprim17ROCPRIM_400000_NS6detail17trampoline_kernelINS0_14default_configENS1_22reduce_config_selectorIN6thrust23THRUST_200600_302600_NS5tupleIbffNS6_9null_typeES8_S8_S8_S8_S8_S8_EEEEZNS1_11reduce_implILb1ES3_PS9_SC_S9_12reduce_tupleIifEEE10hipError_tPvRmT1_T2_T3_mT4_P12ihipStream_tbEUlT_E1_NS1_11comp_targetILNS1_3genE5ELNS1_11target_archE942ELNS1_3gpuE9ELNS1_3repE0EEENS1_30default_config_static_selectorELNS0_4arch9wavefront6targetE0EEEvSI_.uses_vcc, 0
	.set _ZN7rocprim17ROCPRIM_400000_NS6detail17trampoline_kernelINS0_14default_configENS1_22reduce_config_selectorIN6thrust23THRUST_200600_302600_NS5tupleIbffNS6_9null_typeES8_S8_S8_S8_S8_S8_EEEEZNS1_11reduce_implILb1ES3_PS9_SC_S9_12reduce_tupleIifEEE10hipError_tPvRmT1_T2_T3_mT4_P12ihipStream_tbEUlT_E1_NS1_11comp_targetILNS1_3genE5ELNS1_11target_archE942ELNS1_3gpuE9ELNS1_3repE0EEENS1_30default_config_static_selectorELNS0_4arch9wavefront6targetE0EEEvSI_.uses_flat_scratch, 0
	.set _ZN7rocprim17ROCPRIM_400000_NS6detail17trampoline_kernelINS0_14default_configENS1_22reduce_config_selectorIN6thrust23THRUST_200600_302600_NS5tupleIbffNS6_9null_typeES8_S8_S8_S8_S8_S8_EEEEZNS1_11reduce_implILb1ES3_PS9_SC_S9_12reduce_tupleIifEEE10hipError_tPvRmT1_T2_T3_mT4_P12ihipStream_tbEUlT_E1_NS1_11comp_targetILNS1_3genE5ELNS1_11target_archE942ELNS1_3gpuE9ELNS1_3repE0EEENS1_30default_config_static_selectorELNS0_4arch9wavefront6targetE0EEEvSI_.has_dyn_sized_stack, 0
	.set _ZN7rocprim17ROCPRIM_400000_NS6detail17trampoline_kernelINS0_14default_configENS1_22reduce_config_selectorIN6thrust23THRUST_200600_302600_NS5tupleIbffNS6_9null_typeES8_S8_S8_S8_S8_S8_EEEEZNS1_11reduce_implILb1ES3_PS9_SC_S9_12reduce_tupleIifEEE10hipError_tPvRmT1_T2_T3_mT4_P12ihipStream_tbEUlT_E1_NS1_11comp_targetILNS1_3genE5ELNS1_11target_archE942ELNS1_3gpuE9ELNS1_3repE0EEENS1_30default_config_static_selectorELNS0_4arch9wavefront6targetE0EEEvSI_.has_recursion, 0
	.set _ZN7rocprim17ROCPRIM_400000_NS6detail17trampoline_kernelINS0_14default_configENS1_22reduce_config_selectorIN6thrust23THRUST_200600_302600_NS5tupleIbffNS6_9null_typeES8_S8_S8_S8_S8_S8_EEEEZNS1_11reduce_implILb1ES3_PS9_SC_S9_12reduce_tupleIifEEE10hipError_tPvRmT1_T2_T3_mT4_P12ihipStream_tbEUlT_E1_NS1_11comp_targetILNS1_3genE5ELNS1_11target_archE942ELNS1_3gpuE9ELNS1_3repE0EEENS1_30default_config_static_selectorELNS0_4arch9wavefront6targetE0EEEvSI_.has_indirect_call, 0
	.section	.AMDGPU.csdata,"",@progbits
; Kernel info:
; codeLenInByte = 0
; TotalNumSgprs: 0
; NumVgprs: 0
; ScratchSize: 0
; MemoryBound: 0
; FloatMode: 240
; IeeeMode: 1
; LDSByteSize: 0 bytes/workgroup (compile time only)
; SGPRBlocks: 0
; VGPRBlocks: 0
; NumSGPRsForWavesPerEU: 1
; NumVGPRsForWavesPerEU: 1
; NamedBarCnt: 0
; Occupancy: 16
; WaveLimiterHint : 0
; COMPUTE_PGM_RSRC2:SCRATCH_EN: 0
; COMPUTE_PGM_RSRC2:USER_SGPR: 2
; COMPUTE_PGM_RSRC2:TRAP_HANDLER: 0
; COMPUTE_PGM_RSRC2:TGID_X_EN: 1
; COMPUTE_PGM_RSRC2:TGID_Y_EN: 0
; COMPUTE_PGM_RSRC2:TGID_Z_EN: 0
; COMPUTE_PGM_RSRC2:TIDIG_COMP_CNT: 0
	.section	.text._ZN7rocprim17ROCPRIM_400000_NS6detail17trampoline_kernelINS0_14default_configENS1_22reduce_config_selectorIN6thrust23THRUST_200600_302600_NS5tupleIbffNS6_9null_typeES8_S8_S8_S8_S8_S8_EEEEZNS1_11reduce_implILb1ES3_PS9_SC_S9_12reduce_tupleIifEEE10hipError_tPvRmT1_T2_T3_mT4_P12ihipStream_tbEUlT_E1_NS1_11comp_targetILNS1_3genE4ELNS1_11target_archE910ELNS1_3gpuE8ELNS1_3repE0EEENS1_30default_config_static_selectorELNS0_4arch9wavefront6targetE0EEEvSI_,"axG",@progbits,_ZN7rocprim17ROCPRIM_400000_NS6detail17trampoline_kernelINS0_14default_configENS1_22reduce_config_selectorIN6thrust23THRUST_200600_302600_NS5tupleIbffNS6_9null_typeES8_S8_S8_S8_S8_S8_EEEEZNS1_11reduce_implILb1ES3_PS9_SC_S9_12reduce_tupleIifEEE10hipError_tPvRmT1_T2_T3_mT4_P12ihipStream_tbEUlT_E1_NS1_11comp_targetILNS1_3genE4ELNS1_11target_archE910ELNS1_3gpuE8ELNS1_3repE0EEENS1_30default_config_static_selectorELNS0_4arch9wavefront6targetE0EEEvSI_,comdat
	.protected	_ZN7rocprim17ROCPRIM_400000_NS6detail17trampoline_kernelINS0_14default_configENS1_22reduce_config_selectorIN6thrust23THRUST_200600_302600_NS5tupleIbffNS6_9null_typeES8_S8_S8_S8_S8_S8_EEEEZNS1_11reduce_implILb1ES3_PS9_SC_S9_12reduce_tupleIifEEE10hipError_tPvRmT1_T2_T3_mT4_P12ihipStream_tbEUlT_E1_NS1_11comp_targetILNS1_3genE4ELNS1_11target_archE910ELNS1_3gpuE8ELNS1_3repE0EEENS1_30default_config_static_selectorELNS0_4arch9wavefront6targetE0EEEvSI_ ; -- Begin function _ZN7rocprim17ROCPRIM_400000_NS6detail17trampoline_kernelINS0_14default_configENS1_22reduce_config_selectorIN6thrust23THRUST_200600_302600_NS5tupleIbffNS6_9null_typeES8_S8_S8_S8_S8_S8_EEEEZNS1_11reduce_implILb1ES3_PS9_SC_S9_12reduce_tupleIifEEE10hipError_tPvRmT1_T2_T3_mT4_P12ihipStream_tbEUlT_E1_NS1_11comp_targetILNS1_3genE4ELNS1_11target_archE910ELNS1_3gpuE8ELNS1_3repE0EEENS1_30default_config_static_selectorELNS0_4arch9wavefront6targetE0EEEvSI_
	.globl	_ZN7rocprim17ROCPRIM_400000_NS6detail17trampoline_kernelINS0_14default_configENS1_22reduce_config_selectorIN6thrust23THRUST_200600_302600_NS5tupleIbffNS6_9null_typeES8_S8_S8_S8_S8_S8_EEEEZNS1_11reduce_implILb1ES3_PS9_SC_S9_12reduce_tupleIifEEE10hipError_tPvRmT1_T2_T3_mT4_P12ihipStream_tbEUlT_E1_NS1_11comp_targetILNS1_3genE4ELNS1_11target_archE910ELNS1_3gpuE8ELNS1_3repE0EEENS1_30default_config_static_selectorELNS0_4arch9wavefront6targetE0EEEvSI_
	.p2align	8
	.type	_ZN7rocprim17ROCPRIM_400000_NS6detail17trampoline_kernelINS0_14default_configENS1_22reduce_config_selectorIN6thrust23THRUST_200600_302600_NS5tupleIbffNS6_9null_typeES8_S8_S8_S8_S8_S8_EEEEZNS1_11reduce_implILb1ES3_PS9_SC_S9_12reduce_tupleIifEEE10hipError_tPvRmT1_T2_T3_mT4_P12ihipStream_tbEUlT_E1_NS1_11comp_targetILNS1_3genE4ELNS1_11target_archE910ELNS1_3gpuE8ELNS1_3repE0EEENS1_30default_config_static_selectorELNS0_4arch9wavefront6targetE0EEEvSI_,@function
_ZN7rocprim17ROCPRIM_400000_NS6detail17trampoline_kernelINS0_14default_configENS1_22reduce_config_selectorIN6thrust23THRUST_200600_302600_NS5tupleIbffNS6_9null_typeES8_S8_S8_S8_S8_S8_EEEEZNS1_11reduce_implILb1ES3_PS9_SC_S9_12reduce_tupleIifEEE10hipError_tPvRmT1_T2_T3_mT4_P12ihipStream_tbEUlT_E1_NS1_11comp_targetILNS1_3genE4ELNS1_11target_archE910ELNS1_3gpuE8ELNS1_3repE0EEENS1_30default_config_static_selectorELNS0_4arch9wavefront6targetE0EEEvSI_: ; @_ZN7rocprim17ROCPRIM_400000_NS6detail17trampoline_kernelINS0_14default_configENS1_22reduce_config_selectorIN6thrust23THRUST_200600_302600_NS5tupleIbffNS6_9null_typeES8_S8_S8_S8_S8_S8_EEEEZNS1_11reduce_implILb1ES3_PS9_SC_S9_12reduce_tupleIifEEE10hipError_tPvRmT1_T2_T3_mT4_P12ihipStream_tbEUlT_E1_NS1_11comp_targetILNS1_3genE4ELNS1_11target_archE910ELNS1_3gpuE8ELNS1_3repE0EEENS1_30default_config_static_selectorELNS0_4arch9wavefront6targetE0EEEvSI_
; %bb.0:
	.section	.rodata,"a",@progbits
	.p2align	6, 0x0
	.amdhsa_kernel _ZN7rocprim17ROCPRIM_400000_NS6detail17trampoline_kernelINS0_14default_configENS1_22reduce_config_selectorIN6thrust23THRUST_200600_302600_NS5tupleIbffNS6_9null_typeES8_S8_S8_S8_S8_S8_EEEEZNS1_11reduce_implILb1ES3_PS9_SC_S9_12reduce_tupleIifEEE10hipError_tPvRmT1_T2_T3_mT4_P12ihipStream_tbEUlT_E1_NS1_11comp_targetILNS1_3genE4ELNS1_11target_archE910ELNS1_3gpuE8ELNS1_3repE0EEENS1_30default_config_static_selectorELNS0_4arch9wavefront6targetE0EEEvSI_
		.amdhsa_group_segment_fixed_size 0
		.amdhsa_private_segment_fixed_size 0
		.amdhsa_kernarg_size 48
		.amdhsa_user_sgpr_count 2
		.amdhsa_user_sgpr_dispatch_ptr 0
		.amdhsa_user_sgpr_queue_ptr 0
		.amdhsa_user_sgpr_kernarg_segment_ptr 1
		.amdhsa_user_sgpr_dispatch_id 0
		.amdhsa_user_sgpr_kernarg_preload_length 0
		.amdhsa_user_sgpr_kernarg_preload_offset 0
		.amdhsa_user_sgpr_private_segment_size 0
		.amdhsa_wavefront_size32 1
		.amdhsa_uses_dynamic_stack 0
		.amdhsa_enable_private_segment 0
		.amdhsa_system_sgpr_workgroup_id_x 1
		.amdhsa_system_sgpr_workgroup_id_y 0
		.amdhsa_system_sgpr_workgroup_id_z 0
		.amdhsa_system_sgpr_workgroup_info 0
		.amdhsa_system_vgpr_workitem_id 0
		.amdhsa_next_free_vgpr 1
		.amdhsa_next_free_sgpr 1
		.amdhsa_named_barrier_count 0
		.amdhsa_reserve_vcc 0
		.amdhsa_float_round_mode_32 0
		.amdhsa_float_round_mode_16_64 0
		.amdhsa_float_denorm_mode_32 3
		.amdhsa_float_denorm_mode_16_64 3
		.amdhsa_fp16_overflow 0
		.amdhsa_memory_ordered 1
		.amdhsa_forward_progress 1
		.amdhsa_inst_pref_size 0
		.amdhsa_round_robin_scheduling 0
		.amdhsa_exception_fp_ieee_invalid_op 0
		.amdhsa_exception_fp_denorm_src 0
		.amdhsa_exception_fp_ieee_div_zero 0
		.amdhsa_exception_fp_ieee_overflow 0
		.amdhsa_exception_fp_ieee_underflow 0
		.amdhsa_exception_fp_ieee_inexact 0
		.amdhsa_exception_int_div_zero 0
	.end_amdhsa_kernel
	.section	.text._ZN7rocprim17ROCPRIM_400000_NS6detail17trampoline_kernelINS0_14default_configENS1_22reduce_config_selectorIN6thrust23THRUST_200600_302600_NS5tupleIbffNS6_9null_typeES8_S8_S8_S8_S8_S8_EEEEZNS1_11reduce_implILb1ES3_PS9_SC_S9_12reduce_tupleIifEEE10hipError_tPvRmT1_T2_T3_mT4_P12ihipStream_tbEUlT_E1_NS1_11comp_targetILNS1_3genE4ELNS1_11target_archE910ELNS1_3gpuE8ELNS1_3repE0EEENS1_30default_config_static_selectorELNS0_4arch9wavefront6targetE0EEEvSI_,"axG",@progbits,_ZN7rocprim17ROCPRIM_400000_NS6detail17trampoline_kernelINS0_14default_configENS1_22reduce_config_selectorIN6thrust23THRUST_200600_302600_NS5tupleIbffNS6_9null_typeES8_S8_S8_S8_S8_S8_EEEEZNS1_11reduce_implILb1ES3_PS9_SC_S9_12reduce_tupleIifEEE10hipError_tPvRmT1_T2_T3_mT4_P12ihipStream_tbEUlT_E1_NS1_11comp_targetILNS1_3genE4ELNS1_11target_archE910ELNS1_3gpuE8ELNS1_3repE0EEENS1_30default_config_static_selectorELNS0_4arch9wavefront6targetE0EEEvSI_,comdat
.Lfunc_end12:
	.size	_ZN7rocprim17ROCPRIM_400000_NS6detail17trampoline_kernelINS0_14default_configENS1_22reduce_config_selectorIN6thrust23THRUST_200600_302600_NS5tupleIbffNS6_9null_typeES8_S8_S8_S8_S8_S8_EEEEZNS1_11reduce_implILb1ES3_PS9_SC_S9_12reduce_tupleIifEEE10hipError_tPvRmT1_T2_T3_mT4_P12ihipStream_tbEUlT_E1_NS1_11comp_targetILNS1_3genE4ELNS1_11target_archE910ELNS1_3gpuE8ELNS1_3repE0EEENS1_30default_config_static_selectorELNS0_4arch9wavefront6targetE0EEEvSI_, .Lfunc_end12-_ZN7rocprim17ROCPRIM_400000_NS6detail17trampoline_kernelINS0_14default_configENS1_22reduce_config_selectorIN6thrust23THRUST_200600_302600_NS5tupleIbffNS6_9null_typeES8_S8_S8_S8_S8_S8_EEEEZNS1_11reduce_implILb1ES3_PS9_SC_S9_12reduce_tupleIifEEE10hipError_tPvRmT1_T2_T3_mT4_P12ihipStream_tbEUlT_E1_NS1_11comp_targetILNS1_3genE4ELNS1_11target_archE910ELNS1_3gpuE8ELNS1_3repE0EEENS1_30default_config_static_selectorELNS0_4arch9wavefront6targetE0EEEvSI_
                                        ; -- End function
	.set _ZN7rocprim17ROCPRIM_400000_NS6detail17trampoline_kernelINS0_14default_configENS1_22reduce_config_selectorIN6thrust23THRUST_200600_302600_NS5tupleIbffNS6_9null_typeES8_S8_S8_S8_S8_S8_EEEEZNS1_11reduce_implILb1ES3_PS9_SC_S9_12reduce_tupleIifEEE10hipError_tPvRmT1_T2_T3_mT4_P12ihipStream_tbEUlT_E1_NS1_11comp_targetILNS1_3genE4ELNS1_11target_archE910ELNS1_3gpuE8ELNS1_3repE0EEENS1_30default_config_static_selectorELNS0_4arch9wavefront6targetE0EEEvSI_.num_vgpr, 0
	.set _ZN7rocprim17ROCPRIM_400000_NS6detail17trampoline_kernelINS0_14default_configENS1_22reduce_config_selectorIN6thrust23THRUST_200600_302600_NS5tupleIbffNS6_9null_typeES8_S8_S8_S8_S8_S8_EEEEZNS1_11reduce_implILb1ES3_PS9_SC_S9_12reduce_tupleIifEEE10hipError_tPvRmT1_T2_T3_mT4_P12ihipStream_tbEUlT_E1_NS1_11comp_targetILNS1_3genE4ELNS1_11target_archE910ELNS1_3gpuE8ELNS1_3repE0EEENS1_30default_config_static_selectorELNS0_4arch9wavefront6targetE0EEEvSI_.num_agpr, 0
	.set _ZN7rocprim17ROCPRIM_400000_NS6detail17trampoline_kernelINS0_14default_configENS1_22reduce_config_selectorIN6thrust23THRUST_200600_302600_NS5tupleIbffNS6_9null_typeES8_S8_S8_S8_S8_S8_EEEEZNS1_11reduce_implILb1ES3_PS9_SC_S9_12reduce_tupleIifEEE10hipError_tPvRmT1_T2_T3_mT4_P12ihipStream_tbEUlT_E1_NS1_11comp_targetILNS1_3genE4ELNS1_11target_archE910ELNS1_3gpuE8ELNS1_3repE0EEENS1_30default_config_static_selectorELNS0_4arch9wavefront6targetE0EEEvSI_.numbered_sgpr, 0
	.set _ZN7rocprim17ROCPRIM_400000_NS6detail17trampoline_kernelINS0_14default_configENS1_22reduce_config_selectorIN6thrust23THRUST_200600_302600_NS5tupleIbffNS6_9null_typeES8_S8_S8_S8_S8_S8_EEEEZNS1_11reduce_implILb1ES3_PS9_SC_S9_12reduce_tupleIifEEE10hipError_tPvRmT1_T2_T3_mT4_P12ihipStream_tbEUlT_E1_NS1_11comp_targetILNS1_3genE4ELNS1_11target_archE910ELNS1_3gpuE8ELNS1_3repE0EEENS1_30default_config_static_selectorELNS0_4arch9wavefront6targetE0EEEvSI_.num_named_barrier, 0
	.set _ZN7rocprim17ROCPRIM_400000_NS6detail17trampoline_kernelINS0_14default_configENS1_22reduce_config_selectorIN6thrust23THRUST_200600_302600_NS5tupleIbffNS6_9null_typeES8_S8_S8_S8_S8_S8_EEEEZNS1_11reduce_implILb1ES3_PS9_SC_S9_12reduce_tupleIifEEE10hipError_tPvRmT1_T2_T3_mT4_P12ihipStream_tbEUlT_E1_NS1_11comp_targetILNS1_3genE4ELNS1_11target_archE910ELNS1_3gpuE8ELNS1_3repE0EEENS1_30default_config_static_selectorELNS0_4arch9wavefront6targetE0EEEvSI_.private_seg_size, 0
	.set _ZN7rocprim17ROCPRIM_400000_NS6detail17trampoline_kernelINS0_14default_configENS1_22reduce_config_selectorIN6thrust23THRUST_200600_302600_NS5tupleIbffNS6_9null_typeES8_S8_S8_S8_S8_S8_EEEEZNS1_11reduce_implILb1ES3_PS9_SC_S9_12reduce_tupleIifEEE10hipError_tPvRmT1_T2_T3_mT4_P12ihipStream_tbEUlT_E1_NS1_11comp_targetILNS1_3genE4ELNS1_11target_archE910ELNS1_3gpuE8ELNS1_3repE0EEENS1_30default_config_static_selectorELNS0_4arch9wavefront6targetE0EEEvSI_.uses_vcc, 0
	.set _ZN7rocprim17ROCPRIM_400000_NS6detail17trampoline_kernelINS0_14default_configENS1_22reduce_config_selectorIN6thrust23THRUST_200600_302600_NS5tupleIbffNS6_9null_typeES8_S8_S8_S8_S8_S8_EEEEZNS1_11reduce_implILb1ES3_PS9_SC_S9_12reduce_tupleIifEEE10hipError_tPvRmT1_T2_T3_mT4_P12ihipStream_tbEUlT_E1_NS1_11comp_targetILNS1_3genE4ELNS1_11target_archE910ELNS1_3gpuE8ELNS1_3repE0EEENS1_30default_config_static_selectorELNS0_4arch9wavefront6targetE0EEEvSI_.uses_flat_scratch, 0
	.set _ZN7rocprim17ROCPRIM_400000_NS6detail17trampoline_kernelINS0_14default_configENS1_22reduce_config_selectorIN6thrust23THRUST_200600_302600_NS5tupleIbffNS6_9null_typeES8_S8_S8_S8_S8_S8_EEEEZNS1_11reduce_implILb1ES3_PS9_SC_S9_12reduce_tupleIifEEE10hipError_tPvRmT1_T2_T3_mT4_P12ihipStream_tbEUlT_E1_NS1_11comp_targetILNS1_3genE4ELNS1_11target_archE910ELNS1_3gpuE8ELNS1_3repE0EEENS1_30default_config_static_selectorELNS0_4arch9wavefront6targetE0EEEvSI_.has_dyn_sized_stack, 0
	.set _ZN7rocprim17ROCPRIM_400000_NS6detail17trampoline_kernelINS0_14default_configENS1_22reduce_config_selectorIN6thrust23THRUST_200600_302600_NS5tupleIbffNS6_9null_typeES8_S8_S8_S8_S8_S8_EEEEZNS1_11reduce_implILb1ES3_PS9_SC_S9_12reduce_tupleIifEEE10hipError_tPvRmT1_T2_T3_mT4_P12ihipStream_tbEUlT_E1_NS1_11comp_targetILNS1_3genE4ELNS1_11target_archE910ELNS1_3gpuE8ELNS1_3repE0EEENS1_30default_config_static_selectorELNS0_4arch9wavefront6targetE0EEEvSI_.has_recursion, 0
	.set _ZN7rocprim17ROCPRIM_400000_NS6detail17trampoline_kernelINS0_14default_configENS1_22reduce_config_selectorIN6thrust23THRUST_200600_302600_NS5tupleIbffNS6_9null_typeES8_S8_S8_S8_S8_S8_EEEEZNS1_11reduce_implILb1ES3_PS9_SC_S9_12reduce_tupleIifEEE10hipError_tPvRmT1_T2_T3_mT4_P12ihipStream_tbEUlT_E1_NS1_11comp_targetILNS1_3genE4ELNS1_11target_archE910ELNS1_3gpuE8ELNS1_3repE0EEENS1_30default_config_static_selectorELNS0_4arch9wavefront6targetE0EEEvSI_.has_indirect_call, 0
	.section	.AMDGPU.csdata,"",@progbits
; Kernel info:
; codeLenInByte = 0
; TotalNumSgprs: 0
; NumVgprs: 0
; ScratchSize: 0
; MemoryBound: 0
; FloatMode: 240
; IeeeMode: 1
; LDSByteSize: 0 bytes/workgroup (compile time only)
; SGPRBlocks: 0
; VGPRBlocks: 0
; NumSGPRsForWavesPerEU: 1
; NumVGPRsForWavesPerEU: 1
; NamedBarCnt: 0
; Occupancy: 16
; WaveLimiterHint : 0
; COMPUTE_PGM_RSRC2:SCRATCH_EN: 0
; COMPUTE_PGM_RSRC2:USER_SGPR: 2
; COMPUTE_PGM_RSRC2:TRAP_HANDLER: 0
; COMPUTE_PGM_RSRC2:TGID_X_EN: 1
; COMPUTE_PGM_RSRC2:TGID_Y_EN: 0
; COMPUTE_PGM_RSRC2:TGID_Z_EN: 0
; COMPUTE_PGM_RSRC2:TIDIG_COMP_CNT: 0
	.section	.text._ZN7rocprim17ROCPRIM_400000_NS6detail17trampoline_kernelINS0_14default_configENS1_22reduce_config_selectorIN6thrust23THRUST_200600_302600_NS5tupleIbffNS6_9null_typeES8_S8_S8_S8_S8_S8_EEEEZNS1_11reduce_implILb1ES3_PS9_SC_S9_12reduce_tupleIifEEE10hipError_tPvRmT1_T2_T3_mT4_P12ihipStream_tbEUlT_E1_NS1_11comp_targetILNS1_3genE3ELNS1_11target_archE908ELNS1_3gpuE7ELNS1_3repE0EEENS1_30default_config_static_selectorELNS0_4arch9wavefront6targetE0EEEvSI_,"axG",@progbits,_ZN7rocprim17ROCPRIM_400000_NS6detail17trampoline_kernelINS0_14default_configENS1_22reduce_config_selectorIN6thrust23THRUST_200600_302600_NS5tupleIbffNS6_9null_typeES8_S8_S8_S8_S8_S8_EEEEZNS1_11reduce_implILb1ES3_PS9_SC_S9_12reduce_tupleIifEEE10hipError_tPvRmT1_T2_T3_mT4_P12ihipStream_tbEUlT_E1_NS1_11comp_targetILNS1_3genE3ELNS1_11target_archE908ELNS1_3gpuE7ELNS1_3repE0EEENS1_30default_config_static_selectorELNS0_4arch9wavefront6targetE0EEEvSI_,comdat
	.protected	_ZN7rocprim17ROCPRIM_400000_NS6detail17trampoline_kernelINS0_14default_configENS1_22reduce_config_selectorIN6thrust23THRUST_200600_302600_NS5tupleIbffNS6_9null_typeES8_S8_S8_S8_S8_S8_EEEEZNS1_11reduce_implILb1ES3_PS9_SC_S9_12reduce_tupleIifEEE10hipError_tPvRmT1_T2_T3_mT4_P12ihipStream_tbEUlT_E1_NS1_11comp_targetILNS1_3genE3ELNS1_11target_archE908ELNS1_3gpuE7ELNS1_3repE0EEENS1_30default_config_static_selectorELNS0_4arch9wavefront6targetE0EEEvSI_ ; -- Begin function _ZN7rocprim17ROCPRIM_400000_NS6detail17trampoline_kernelINS0_14default_configENS1_22reduce_config_selectorIN6thrust23THRUST_200600_302600_NS5tupleIbffNS6_9null_typeES8_S8_S8_S8_S8_S8_EEEEZNS1_11reduce_implILb1ES3_PS9_SC_S9_12reduce_tupleIifEEE10hipError_tPvRmT1_T2_T3_mT4_P12ihipStream_tbEUlT_E1_NS1_11comp_targetILNS1_3genE3ELNS1_11target_archE908ELNS1_3gpuE7ELNS1_3repE0EEENS1_30default_config_static_selectorELNS0_4arch9wavefront6targetE0EEEvSI_
	.globl	_ZN7rocprim17ROCPRIM_400000_NS6detail17trampoline_kernelINS0_14default_configENS1_22reduce_config_selectorIN6thrust23THRUST_200600_302600_NS5tupleIbffNS6_9null_typeES8_S8_S8_S8_S8_S8_EEEEZNS1_11reduce_implILb1ES3_PS9_SC_S9_12reduce_tupleIifEEE10hipError_tPvRmT1_T2_T3_mT4_P12ihipStream_tbEUlT_E1_NS1_11comp_targetILNS1_3genE3ELNS1_11target_archE908ELNS1_3gpuE7ELNS1_3repE0EEENS1_30default_config_static_selectorELNS0_4arch9wavefront6targetE0EEEvSI_
	.p2align	8
	.type	_ZN7rocprim17ROCPRIM_400000_NS6detail17trampoline_kernelINS0_14default_configENS1_22reduce_config_selectorIN6thrust23THRUST_200600_302600_NS5tupleIbffNS6_9null_typeES8_S8_S8_S8_S8_S8_EEEEZNS1_11reduce_implILb1ES3_PS9_SC_S9_12reduce_tupleIifEEE10hipError_tPvRmT1_T2_T3_mT4_P12ihipStream_tbEUlT_E1_NS1_11comp_targetILNS1_3genE3ELNS1_11target_archE908ELNS1_3gpuE7ELNS1_3repE0EEENS1_30default_config_static_selectorELNS0_4arch9wavefront6targetE0EEEvSI_,@function
_ZN7rocprim17ROCPRIM_400000_NS6detail17trampoline_kernelINS0_14default_configENS1_22reduce_config_selectorIN6thrust23THRUST_200600_302600_NS5tupleIbffNS6_9null_typeES8_S8_S8_S8_S8_S8_EEEEZNS1_11reduce_implILb1ES3_PS9_SC_S9_12reduce_tupleIifEEE10hipError_tPvRmT1_T2_T3_mT4_P12ihipStream_tbEUlT_E1_NS1_11comp_targetILNS1_3genE3ELNS1_11target_archE908ELNS1_3gpuE7ELNS1_3repE0EEENS1_30default_config_static_selectorELNS0_4arch9wavefront6targetE0EEEvSI_: ; @_ZN7rocprim17ROCPRIM_400000_NS6detail17trampoline_kernelINS0_14default_configENS1_22reduce_config_selectorIN6thrust23THRUST_200600_302600_NS5tupleIbffNS6_9null_typeES8_S8_S8_S8_S8_S8_EEEEZNS1_11reduce_implILb1ES3_PS9_SC_S9_12reduce_tupleIifEEE10hipError_tPvRmT1_T2_T3_mT4_P12ihipStream_tbEUlT_E1_NS1_11comp_targetILNS1_3genE3ELNS1_11target_archE908ELNS1_3gpuE7ELNS1_3repE0EEENS1_30default_config_static_selectorELNS0_4arch9wavefront6targetE0EEEvSI_
; %bb.0:
	.section	.rodata,"a",@progbits
	.p2align	6, 0x0
	.amdhsa_kernel _ZN7rocprim17ROCPRIM_400000_NS6detail17trampoline_kernelINS0_14default_configENS1_22reduce_config_selectorIN6thrust23THRUST_200600_302600_NS5tupleIbffNS6_9null_typeES8_S8_S8_S8_S8_S8_EEEEZNS1_11reduce_implILb1ES3_PS9_SC_S9_12reduce_tupleIifEEE10hipError_tPvRmT1_T2_T3_mT4_P12ihipStream_tbEUlT_E1_NS1_11comp_targetILNS1_3genE3ELNS1_11target_archE908ELNS1_3gpuE7ELNS1_3repE0EEENS1_30default_config_static_selectorELNS0_4arch9wavefront6targetE0EEEvSI_
		.amdhsa_group_segment_fixed_size 0
		.amdhsa_private_segment_fixed_size 0
		.amdhsa_kernarg_size 48
		.amdhsa_user_sgpr_count 2
		.amdhsa_user_sgpr_dispatch_ptr 0
		.amdhsa_user_sgpr_queue_ptr 0
		.amdhsa_user_sgpr_kernarg_segment_ptr 1
		.amdhsa_user_sgpr_dispatch_id 0
		.amdhsa_user_sgpr_kernarg_preload_length 0
		.amdhsa_user_sgpr_kernarg_preload_offset 0
		.amdhsa_user_sgpr_private_segment_size 0
		.amdhsa_wavefront_size32 1
		.amdhsa_uses_dynamic_stack 0
		.amdhsa_enable_private_segment 0
		.amdhsa_system_sgpr_workgroup_id_x 1
		.amdhsa_system_sgpr_workgroup_id_y 0
		.amdhsa_system_sgpr_workgroup_id_z 0
		.amdhsa_system_sgpr_workgroup_info 0
		.amdhsa_system_vgpr_workitem_id 0
		.amdhsa_next_free_vgpr 1
		.amdhsa_next_free_sgpr 1
		.amdhsa_named_barrier_count 0
		.amdhsa_reserve_vcc 0
		.amdhsa_float_round_mode_32 0
		.amdhsa_float_round_mode_16_64 0
		.amdhsa_float_denorm_mode_32 3
		.amdhsa_float_denorm_mode_16_64 3
		.amdhsa_fp16_overflow 0
		.amdhsa_memory_ordered 1
		.amdhsa_forward_progress 1
		.amdhsa_inst_pref_size 0
		.amdhsa_round_robin_scheduling 0
		.amdhsa_exception_fp_ieee_invalid_op 0
		.amdhsa_exception_fp_denorm_src 0
		.amdhsa_exception_fp_ieee_div_zero 0
		.amdhsa_exception_fp_ieee_overflow 0
		.amdhsa_exception_fp_ieee_underflow 0
		.amdhsa_exception_fp_ieee_inexact 0
		.amdhsa_exception_int_div_zero 0
	.end_amdhsa_kernel
	.section	.text._ZN7rocprim17ROCPRIM_400000_NS6detail17trampoline_kernelINS0_14default_configENS1_22reduce_config_selectorIN6thrust23THRUST_200600_302600_NS5tupleIbffNS6_9null_typeES8_S8_S8_S8_S8_S8_EEEEZNS1_11reduce_implILb1ES3_PS9_SC_S9_12reduce_tupleIifEEE10hipError_tPvRmT1_T2_T3_mT4_P12ihipStream_tbEUlT_E1_NS1_11comp_targetILNS1_3genE3ELNS1_11target_archE908ELNS1_3gpuE7ELNS1_3repE0EEENS1_30default_config_static_selectorELNS0_4arch9wavefront6targetE0EEEvSI_,"axG",@progbits,_ZN7rocprim17ROCPRIM_400000_NS6detail17trampoline_kernelINS0_14default_configENS1_22reduce_config_selectorIN6thrust23THRUST_200600_302600_NS5tupleIbffNS6_9null_typeES8_S8_S8_S8_S8_S8_EEEEZNS1_11reduce_implILb1ES3_PS9_SC_S9_12reduce_tupleIifEEE10hipError_tPvRmT1_T2_T3_mT4_P12ihipStream_tbEUlT_E1_NS1_11comp_targetILNS1_3genE3ELNS1_11target_archE908ELNS1_3gpuE7ELNS1_3repE0EEENS1_30default_config_static_selectorELNS0_4arch9wavefront6targetE0EEEvSI_,comdat
.Lfunc_end13:
	.size	_ZN7rocprim17ROCPRIM_400000_NS6detail17trampoline_kernelINS0_14default_configENS1_22reduce_config_selectorIN6thrust23THRUST_200600_302600_NS5tupleIbffNS6_9null_typeES8_S8_S8_S8_S8_S8_EEEEZNS1_11reduce_implILb1ES3_PS9_SC_S9_12reduce_tupleIifEEE10hipError_tPvRmT1_T2_T3_mT4_P12ihipStream_tbEUlT_E1_NS1_11comp_targetILNS1_3genE3ELNS1_11target_archE908ELNS1_3gpuE7ELNS1_3repE0EEENS1_30default_config_static_selectorELNS0_4arch9wavefront6targetE0EEEvSI_, .Lfunc_end13-_ZN7rocprim17ROCPRIM_400000_NS6detail17trampoline_kernelINS0_14default_configENS1_22reduce_config_selectorIN6thrust23THRUST_200600_302600_NS5tupleIbffNS6_9null_typeES8_S8_S8_S8_S8_S8_EEEEZNS1_11reduce_implILb1ES3_PS9_SC_S9_12reduce_tupleIifEEE10hipError_tPvRmT1_T2_T3_mT4_P12ihipStream_tbEUlT_E1_NS1_11comp_targetILNS1_3genE3ELNS1_11target_archE908ELNS1_3gpuE7ELNS1_3repE0EEENS1_30default_config_static_selectorELNS0_4arch9wavefront6targetE0EEEvSI_
                                        ; -- End function
	.set _ZN7rocprim17ROCPRIM_400000_NS6detail17trampoline_kernelINS0_14default_configENS1_22reduce_config_selectorIN6thrust23THRUST_200600_302600_NS5tupleIbffNS6_9null_typeES8_S8_S8_S8_S8_S8_EEEEZNS1_11reduce_implILb1ES3_PS9_SC_S9_12reduce_tupleIifEEE10hipError_tPvRmT1_T2_T3_mT4_P12ihipStream_tbEUlT_E1_NS1_11comp_targetILNS1_3genE3ELNS1_11target_archE908ELNS1_3gpuE7ELNS1_3repE0EEENS1_30default_config_static_selectorELNS0_4arch9wavefront6targetE0EEEvSI_.num_vgpr, 0
	.set _ZN7rocprim17ROCPRIM_400000_NS6detail17trampoline_kernelINS0_14default_configENS1_22reduce_config_selectorIN6thrust23THRUST_200600_302600_NS5tupleIbffNS6_9null_typeES8_S8_S8_S8_S8_S8_EEEEZNS1_11reduce_implILb1ES3_PS9_SC_S9_12reduce_tupleIifEEE10hipError_tPvRmT1_T2_T3_mT4_P12ihipStream_tbEUlT_E1_NS1_11comp_targetILNS1_3genE3ELNS1_11target_archE908ELNS1_3gpuE7ELNS1_3repE0EEENS1_30default_config_static_selectorELNS0_4arch9wavefront6targetE0EEEvSI_.num_agpr, 0
	.set _ZN7rocprim17ROCPRIM_400000_NS6detail17trampoline_kernelINS0_14default_configENS1_22reduce_config_selectorIN6thrust23THRUST_200600_302600_NS5tupleIbffNS6_9null_typeES8_S8_S8_S8_S8_S8_EEEEZNS1_11reduce_implILb1ES3_PS9_SC_S9_12reduce_tupleIifEEE10hipError_tPvRmT1_T2_T3_mT4_P12ihipStream_tbEUlT_E1_NS1_11comp_targetILNS1_3genE3ELNS1_11target_archE908ELNS1_3gpuE7ELNS1_3repE0EEENS1_30default_config_static_selectorELNS0_4arch9wavefront6targetE0EEEvSI_.numbered_sgpr, 0
	.set _ZN7rocprim17ROCPRIM_400000_NS6detail17trampoline_kernelINS0_14default_configENS1_22reduce_config_selectorIN6thrust23THRUST_200600_302600_NS5tupleIbffNS6_9null_typeES8_S8_S8_S8_S8_S8_EEEEZNS1_11reduce_implILb1ES3_PS9_SC_S9_12reduce_tupleIifEEE10hipError_tPvRmT1_T2_T3_mT4_P12ihipStream_tbEUlT_E1_NS1_11comp_targetILNS1_3genE3ELNS1_11target_archE908ELNS1_3gpuE7ELNS1_3repE0EEENS1_30default_config_static_selectorELNS0_4arch9wavefront6targetE0EEEvSI_.num_named_barrier, 0
	.set _ZN7rocprim17ROCPRIM_400000_NS6detail17trampoline_kernelINS0_14default_configENS1_22reduce_config_selectorIN6thrust23THRUST_200600_302600_NS5tupleIbffNS6_9null_typeES8_S8_S8_S8_S8_S8_EEEEZNS1_11reduce_implILb1ES3_PS9_SC_S9_12reduce_tupleIifEEE10hipError_tPvRmT1_T2_T3_mT4_P12ihipStream_tbEUlT_E1_NS1_11comp_targetILNS1_3genE3ELNS1_11target_archE908ELNS1_3gpuE7ELNS1_3repE0EEENS1_30default_config_static_selectorELNS0_4arch9wavefront6targetE0EEEvSI_.private_seg_size, 0
	.set _ZN7rocprim17ROCPRIM_400000_NS6detail17trampoline_kernelINS0_14default_configENS1_22reduce_config_selectorIN6thrust23THRUST_200600_302600_NS5tupleIbffNS6_9null_typeES8_S8_S8_S8_S8_S8_EEEEZNS1_11reduce_implILb1ES3_PS9_SC_S9_12reduce_tupleIifEEE10hipError_tPvRmT1_T2_T3_mT4_P12ihipStream_tbEUlT_E1_NS1_11comp_targetILNS1_3genE3ELNS1_11target_archE908ELNS1_3gpuE7ELNS1_3repE0EEENS1_30default_config_static_selectorELNS0_4arch9wavefront6targetE0EEEvSI_.uses_vcc, 0
	.set _ZN7rocprim17ROCPRIM_400000_NS6detail17trampoline_kernelINS0_14default_configENS1_22reduce_config_selectorIN6thrust23THRUST_200600_302600_NS5tupleIbffNS6_9null_typeES8_S8_S8_S8_S8_S8_EEEEZNS1_11reduce_implILb1ES3_PS9_SC_S9_12reduce_tupleIifEEE10hipError_tPvRmT1_T2_T3_mT4_P12ihipStream_tbEUlT_E1_NS1_11comp_targetILNS1_3genE3ELNS1_11target_archE908ELNS1_3gpuE7ELNS1_3repE0EEENS1_30default_config_static_selectorELNS0_4arch9wavefront6targetE0EEEvSI_.uses_flat_scratch, 0
	.set _ZN7rocprim17ROCPRIM_400000_NS6detail17trampoline_kernelINS0_14default_configENS1_22reduce_config_selectorIN6thrust23THRUST_200600_302600_NS5tupleIbffNS6_9null_typeES8_S8_S8_S8_S8_S8_EEEEZNS1_11reduce_implILb1ES3_PS9_SC_S9_12reduce_tupleIifEEE10hipError_tPvRmT1_T2_T3_mT4_P12ihipStream_tbEUlT_E1_NS1_11comp_targetILNS1_3genE3ELNS1_11target_archE908ELNS1_3gpuE7ELNS1_3repE0EEENS1_30default_config_static_selectorELNS0_4arch9wavefront6targetE0EEEvSI_.has_dyn_sized_stack, 0
	.set _ZN7rocprim17ROCPRIM_400000_NS6detail17trampoline_kernelINS0_14default_configENS1_22reduce_config_selectorIN6thrust23THRUST_200600_302600_NS5tupleIbffNS6_9null_typeES8_S8_S8_S8_S8_S8_EEEEZNS1_11reduce_implILb1ES3_PS9_SC_S9_12reduce_tupleIifEEE10hipError_tPvRmT1_T2_T3_mT4_P12ihipStream_tbEUlT_E1_NS1_11comp_targetILNS1_3genE3ELNS1_11target_archE908ELNS1_3gpuE7ELNS1_3repE0EEENS1_30default_config_static_selectorELNS0_4arch9wavefront6targetE0EEEvSI_.has_recursion, 0
	.set _ZN7rocprim17ROCPRIM_400000_NS6detail17trampoline_kernelINS0_14default_configENS1_22reduce_config_selectorIN6thrust23THRUST_200600_302600_NS5tupleIbffNS6_9null_typeES8_S8_S8_S8_S8_S8_EEEEZNS1_11reduce_implILb1ES3_PS9_SC_S9_12reduce_tupleIifEEE10hipError_tPvRmT1_T2_T3_mT4_P12ihipStream_tbEUlT_E1_NS1_11comp_targetILNS1_3genE3ELNS1_11target_archE908ELNS1_3gpuE7ELNS1_3repE0EEENS1_30default_config_static_selectorELNS0_4arch9wavefront6targetE0EEEvSI_.has_indirect_call, 0
	.section	.AMDGPU.csdata,"",@progbits
; Kernel info:
; codeLenInByte = 0
; TotalNumSgprs: 0
; NumVgprs: 0
; ScratchSize: 0
; MemoryBound: 0
; FloatMode: 240
; IeeeMode: 1
; LDSByteSize: 0 bytes/workgroup (compile time only)
; SGPRBlocks: 0
; VGPRBlocks: 0
; NumSGPRsForWavesPerEU: 1
; NumVGPRsForWavesPerEU: 1
; NamedBarCnt: 0
; Occupancy: 16
; WaveLimiterHint : 0
; COMPUTE_PGM_RSRC2:SCRATCH_EN: 0
; COMPUTE_PGM_RSRC2:USER_SGPR: 2
; COMPUTE_PGM_RSRC2:TRAP_HANDLER: 0
; COMPUTE_PGM_RSRC2:TGID_X_EN: 1
; COMPUTE_PGM_RSRC2:TGID_Y_EN: 0
; COMPUTE_PGM_RSRC2:TGID_Z_EN: 0
; COMPUTE_PGM_RSRC2:TIDIG_COMP_CNT: 0
	.section	.text._ZN7rocprim17ROCPRIM_400000_NS6detail17trampoline_kernelINS0_14default_configENS1_22reduce_config_selectorIN6thrust23THRUST_200600_302600_NS5tupleIbffNS6_9null_typeES8_S8_S8_S8_S8_S8_EEEEZNS1_11reduce_implILb1ES3_PS9_SC_S9_12reduce_tupleIifEEE10hipError_tPvRmT1_T2_T3_mT4_P12ihipStream_tbEUlT_E1_NS1_11comp_targetILNS1_3genE2ELNS1_11target_archE906ELNS1_3gpuE6ELNS1_3repE0EEENS1_30default_config_static_selectorELNS0_4arch9wavefront6targetE0EEEvSI_,"axG",@progbits,_ZN7rocprim17ROCPRIM_400000_NS6detail17trampoline_kernelINS0_14default_configENS1_22reduce_config_selectorIN6thrust23THRUST_200600_302600_NS5tupleIbffNS6_9null_typeES8_S8_S8_S8_S8_S8_EEEEZNS1_11reduce_implILb1ES3_PS9_SC_S9_12reduce_tupleIifEEE10hipError_tPvRmT1_T2_T3_mT4_P12ihipStream_tbEUlT_E1_NS1_11comp_targetILNS1_3genE2ELNS1_11target_archE906ELNS1_3gpuE6ELNS1_3repE0EEENS1_30default_config_static_selectorELNS0_4arch9wavefront6targetE0EEEvSI_,comdat
	.protected	_ZN7rocprim17ROCPRIM_400000_NS6detail17trampoline_kernelINS0_14default_configENS1_22reduce_config_selectorIN6thrust23THRUST_200600_302600_NS5tupleIbffNS6_9null_typeES8_S8_S8_S8_S8_S8_EEEEZNS1_11reduce_implILb1ES3_PS9_SC_S9_12reduce_tupleIifEEE10hipError_tPvRmT1_T2_T3_mT4_P12ihipStream_tbEUlT_E1_NS1_11comp_targetILNS1_3genE2ELNS1_11target_archE906ELNS1_3gpuE6ELNS1_3repE0EEENS1_30default_config_static_selectorELNS0_4arch9wavefront6targetE0EEEvSI_ ; -- Begin function _ZN7rocprim17ROCPRIM_400000_NS6detail17trampoline_kernelINS0_14default_configENS1_22reduce_config_selectorIN6thrust23THRUST_200600_302600_NS5tupleIbffNS6_9null_typeES8_S8_S8_S8_S8_S8_EEEEZNS1_11reduce_implILb1ES3_PS9_SC_S9_12reduce_tupleIifEEE10hipError_tPvRmT1_T2_T3_mT4_P12ihipStream_tbEUlT_E1_NS1_11comp_targetILNS1_3genE2ELNS1_11target_archE906ELNS1_3gpuE6ELNS1_3repE0EEENS1_30default_config_static_selectorELNS0_4arch9wavefront6targetE0EEEvSI_
	.globl	_ZN7rocprim17ROCPRIM_400000_NS6detail17trampoline_kernelINS0_14default_configENS1_22reduce_config_selectorIN6thrust23THRUST_200600_302600_NS5tupleIbffNS6_9null_typeES8_S8_S8_S8_S8_S8_EEEEZNS1_11reduce_implILb1ES3_PS9_SC_S9_12reduce_tupleIifEEE10hipError_tPvRmT1_T2_T3_mT4_P12ihipStream_tbEUlT_E1_NS1_11comp_targetILNS1_3genE2ELNS1_11target_archE906ELNS1_3gpuE6ELNS1_3repE0EEENS1_30default_config_static_selectorELNS0_4arch9wavefront6targetE0EEEvSI_
	.p2align	8
	.type	_ZN7rocprim17ROCPRIM_400000_NS6detail17trampoline_kernelINS0_14default_configENS1_22reduce_config_selectorIN6thrust23THRUST_200600_302600_NS5tupleIbffNS6_9null_typeES8_S8_S8_S8_S8_S8_EEEEZNS1_11reduce_implILb1ES3_PS9_SC_S9_12reduce_tupleIifEEE10hipError_tPvRmT1_T2_T3_mT4_P12ihipStream_tbEUlT_E1_NS1_11comp_targetILNS1_3genE2ELNS1_11target_archE906ELNS1_3gpuE6ELNS1_3repE0EEENS1_30default_config_static_selectorELNS0_4arch9wavefront6targetE0EEEvSI_,@function
_ZN7rocprim17ROCPRIM_400000_NS6detail17trampoline_kernelINS0_14default_configENS1_22reduce_config_selectorIN6thrust23THRUST_200600_302600_NS5tupleIbffNS6_9null_typeES8_S8_S8_S8_S8_S8_EEEEZNS1_11reduce_implILb1ES3_PS9_SC_S9_12reduce_tupleIifEEE10hipError_tPvRmT1_T2_T3_mT4_P12ihipStream_tbEUlT_E1_NS1_11comp_targetILNS1_3genE2ELNS1_11target_archE906ELNS1_3gpuE6ELNS1_3repE0EEENS1_30default_config_static_selectorELNS0_4arch9wavefront6targetE0EEEvSI_: ; @_ZN7rocprim17ROCPRIM_400000_NS6detail17trampoline_kernelINS0_14default_configENS1_22reduce_config_selectorIN6thrust23THRUST_200600_302600_NS5tupleIbffNS6_9null_typeES8_S8_S8_S8_S8_S8_EEEEZNS1_11reduce_implILb1ES3_PS9_SC_S9_12reduce_tupleIifEEE10hipError_tPvRmT1_T2_T3_mT4_P12ihipStream_tbEUlT_E1_NS1_11comp_targetILNS1_3genE2ELNS1_11target_archE906ELNS1_3gpuE6ELNS1_3repE0EEENS1_30default_config_static_selectorELNS0_4arch9wavefront6targetE0EEEvSI_
; %bb.0:
	.section	.rodata,"a",@progbits
	.p2align	6, 0x0
	.amdhsa_kernel _ZN7rocprim17ROCPRIM_400000_NS6detail17trampoline_kernelINS0_14default_configENS1_22reduce_config_selectorIN6thrust23THRUST_200600_302600_NS5tupleIbffNS6_9null_typeES8_S8_S8_S8_S8_S8_EEEEZNS1_11reduce_implILb1ES3_PS9_SC_S9_12reduce_tupleIifEEE10hipError_tPvRmT1_T2_T3_mT4_P12ihipStream_tbEUlT_E1_NS1_11comp_targetILNS1_3genE2ELNS1_11target_archE906ELNS1_3gpuE6ELNS1_3repE0EEENS1_30default_config_static_selectorELNS0_4arch9wavefront6targetE0EEEvSI_
		.amdhsa_group_segment_fixed_size 0
		.amdhsa_private_segment_fixed_size 0
		.amdhsa_kernarg_size 48
		.amdhsa_user_sgpr_count 2
		.amdhsa_user_sgpr_dispatch_ptr 0
		.amdhsa_user_sgpr_queue_ptr 0
		.amdhsa_user_sgpr_kernarg_segment_ptr 1
		.amdhsa_user_sgpr_dispatch_id 0
		.amdhsa_user_sgpr_kernarg_preload_length 0
		.amdhsa_user_sgpr_kernarg_preload_offset 0
		.amdhsa_user_sgpr_private_segment_size 0
		.amdhsa_wavefront_size32 1
		.amdhsa_uses_dynamic_stack 0
		.amdhsa_enable_private_segment 0
		.amdhsa_system_sgpr_workgroup_id_x 1
		.amdhsa_system_sgpr_workgroup_id_y 0
		.amdhsa_system_sgpr_workgroup_id_z 0
		.amdhsa_system_sgpr_workgroup_info 0
		.amdhsa_system_vgpr_workitem_id 0
		.amdhsa_next_free_vgpr 1
		.amdhsa_next_free_sgpr 1
		.amdhsa_named_barrier_count 0
		.amdhsa_reserve_vcc 0
		.amdhsa_float_round_mode_32 0
		.amdhsa_float_round_mode_16_64 0
		.amdhsa_float_denorm_mode_32 3
		.amdhsa_float_denorm_mode_16_64 3
		.amdhsa_fp16_overflow 0
		.amdhsa_memory_ordered 1
		.amdhsa_forward_progress 1
		.amdhsa_inst_pref_size 0
		.amdhsa_round_robin_scheduling 0
		.amdhsa_exception_fp_ieee_invalid_op 0
		.amdhsa_exception_fp_denorm_src 0
		.amdhsa_exception_fp_ieee_div_zero 0
		.amdhsa_exception_fp_ieee_overflow 0
		.amdhsa_exception_fp_ieee_underflow 0
		.amdhsa_exception_fp_ieee_inexact 0
		.amdhsa_exception_int_div_zero 0
	.end_amdhsa_kernel
	.section	.text._ZN7rocprim17ROCPRIM_400000_NS6detail17trampoline_kernelINS0_14default_configENS1_22reduce_config_selectorIN6thrust23THRUST_200600_302600_NS5tupleIbffNS6_9null_typeES8_S8_S8_S8_S8_S8_EEEEZNS1_11reduce_implILb1ES3_PS9_SC_S9_12reduce_tupleIifEEE10hipError_tPvRmT1_T2_T3_mT4_P12ihipStream_tbEUlT_E1_NS1_11comp_targetILNS1_3genE2ELNS1_11target_archE906ELNS1_3gpuE6ELNS1_3repE0EEENS1_30default_config_static_selectorELNS0_4arch9wavefront6targetE0EEEvSI_,"axG",@progbits,_ZN7rocprim17ROCPRIM_400000_NS6detail17trampoline_kernelINS0_14default_configENS1_22reduce_config_selectorIN6thrust23THRUST_200600_302600_NS5tupleIbffNS6_9null_typeES8_S8_S8_S8_S8_S8_EEEEZNS1_11reduce_implILb1ES3_PS9_SC_S9_12reduce_tupleIifEEE10hipError_tPvRmT1_T2_T3_mT4_P12ihipStream_tbEUlT_E1_NS1_11comp_targetILNS1_3genE2ELNS1_11target_archE906ELNS1_3gpuE6ELNS1_3repE0EEENS1_30default_config_static_selectorELNS0_4arch9wavefront6targetE0EEEvSI_,comdat
.Lfunc_end14:
	.size	_ZN7rocprim17ROCPRIM_400000_NS6detail17trampoline_kernelINS0_14default_configENS1_22reduce_config_selectorIN6thrust23THRUST_200600_302600_NS5tupleIbffNS6_9null_typeES8_S8_S8_S8_S8_S8_EEEEZNS1_11reduce_implILb1ES3_PS9_SC_S9_12reduce_tupleIifEEE10hipError_tPvRmT1_T2_T3_mT4_P12ihipStream_tbEUlT_E1_NS1_11comp_targetILNS1_3genE2ELNS1_11target_archE906ELNS1_3gpuE6ELNS1_3repE0EEENS1_30default_config_static_selectorELNS0_4arch9wavefront6targetE0EEEvSI_, .Lfunc_end14-_ZN7rocprim17ROCPRIM_400000_NS6detail17trampoline_kernelINS0_14default_configENS1_22reduce_config_selectorIN6thrust23THRUST_200600_302600_NS5tupleIbffNS6_9null_typeES8_S8_S8_S8_S8_S8_EEEEZNS1_11reduce_implILb1ES3_PS9_SC_S9_12reduce_tupleIifEEE10hipError_tPvRmT1_T2_T3_mT4_P12ihipStream_tbEUlT_E1_NS1_11comp_targetILNS1_3genE2ELNS1_11target_archE906ELNS1_3gpuE6ELNS1_3repE0EEENS1_30default_config_static_selectorELNS0_4arch9wavefront6targetE0EEEvSI_
                                        ; -- End function
	.set _ZN7rocprim17ROCPRIM_400000_NS6detail17trampoline_kernelINS0_14default_configENS1_22reduce_config_selectorIN6thrust23THRUST_200600_302600_NS5tupleIbffNS6_9null_typeES8_S8_S8_S8_S8_S8_EEEEZNS1_11reduce_implILb1ES3_PS9_SC_S9_12reduce_tupleIifEEE10hipError_tPvRmT1_T2_T3_mT4_P12ihipStream_tbEUlT_E1_NS1_11comp_targetILNS1_3genE2ELNS1_11target_archE906ELNS1_3gpuE6ELNS1_3repE0EEENS1_30default_config_static_selectorELNS0_4arch9wavefront6targetE0EEEvSI_.num_vgpr, 0
	.set _ZN7rocprim17ROCPRIM_400000_NS6detail17trampoline_kernelINS0_14default_configENS1_22reduce_config_selectorIN6thrust23THRUST_200600_302600_NS5tupleIbffNS6_9null_typeES8_S8_S8_S8_S8_S8_EEEEZNS1_11reduce_implILb1ES3_PS9_SC_S9_12reduce_tupleIifEEE10hipError_tPvRmT1_T2_T3_mT4_P12ihipStream_tbEUlT_E1_NS1_11comp_targetILNS1_3genE2ELNS1_11target_archE906ELNS1_3gpuE6ELNS1_3repE0EEENS1_30default_config_static_selectorELNS0_4arch9wavefront6targetE0EEEvSI_.num_agpr, 0
	.set _ZN7rocprim17ROCPRIM_400000_NS6detail17trampoline_kernelINS0_14default_configENS1_22reduce_config_selectorIN6thrust23THRUST_200600_302600_NS5tupleIbffNS6_9null_typeES8_S8_S8_S8_S8_S8_EEEEZNS1_11reduce_implILb1ES3_PS9_SC_S9_12reduce_tupleIifEEE10hipError_tPvRmT1_T2_T3_mT4_P12ihipStream_tbEUlT_E1_NS1_11comp_targetILNS1_3genE2ELNS1_11target_archE906ELNS1_3gpuE6ELNS1_3repE0EEENS1_30default_config_static_selectorELNS0_4arch9wavefront6targetE0EEEvSI_.numbered_sgpr, 0
	.set _ZN7rocprim17ROCPRIM_400000_NS6detail17trampoline_kernelINS0_14default_configENS1_22reduce_config_selectorIN6thrust23THRUST_200600_302600_NS5tupleIbffNS6_9null_typeES8_S8_S8_S8_S8_S8_EEEEZNS1_11reduce_implILb1ES3_PS9_SC_S9_12reduce_tupleIifEEE10hipError_tPvRmT1_T2_T3_mT4_P12ihipStream_tbEUlT_E1_NS1_11comp_targetILNS1_3genE2ELNS1_11target_archE906ELNS1_3gpuE6ELNS1_3repE0EEENS1_30default_config_static_selectorELNS0_4arch9wavefront6targetE0EEEvSI_.num_named_barrier, 0
	.set _ZN7rocprim17ROCPRIM_400000_NS6detail17trampoline_kernelINS0_14default_configENS1_22reduce_config_selectorIN6thrust23THRUST_200600_302600_NS5tupleIbffNS6_9null_typeES8_S8_S8_S8_S8_S8_EEEEZNS1_11reduce_implILb1ES3_PS9_SC_S9_12reduce_tupleIifEEE10hipError_tPvRmT1_T2_T3_mT4_P12ihipStream_tbEUlT_E1_NS1_11comp_targetILNS1_3genE2ELNS1_11target_archE906ELNS1_3gpuE6ELNS1_3repE0EEENS1_30default_config_static_selectorELNS0_4arch9wavefront6targetE0EEEvSI_.private_seg_size, 0
	.set _ZN7rocprim17ROCPRIM_400000_NS6detail17trampoline_kernelINS0_14default_configENS1_22reduce_config_selectorIN6thrust23THRUST_200600_302600_NS5tupleIbffNS6_9null_typeES8_S8_S8_S8_S8_S8_EEEEZNS1_11reduce_implILb1ES3_PS9_SC_S9_12reduce_tupleIifEEE10hipError_tPvRmT1_T2_T3_mT4_P12ihipStream_tbEUlT_E1_NS1_11comp_targetILNS1_3genE2ELNS1_11target_archE906ELNS1_3gpuE6ELNS1_3repE0EEENS1_30default_config_static_selectorELNS0_4arch9wavefront6targetE0EEEvSI_.uses_vcc, 0
	.set _ZN7rocprim17ROCPRIM_400000_NS6detail17trampoline_kernelINS0_14default_configENS1_22reduce_config_selectorIN6thrust23THRUST_200600_302600_NS5tupleIbffNS6_9null_typeES8_S8_S8_S8_S8_S8_EEEEZNS1_11reduce_implILb1ES3_PS9_SC_S9_12reduce_tupleIifEEE10hipError_tPvRmT1_T2_T3_mT4_P12ihipStream_tbEUlT_E1_NS1_11comp_targetILNS1_3genE2ELNS1_11target_archE906ELNS1_3gpuE6ELNS1_3repE0EEENS1_30default_config_static_selectorELNS0_4arch9wavefront6targetE0EEEvSI_.uses_flat_scratch, 0
	.set _ZN7rocprim17ROCPRIM_400000_NS6detail17trampoline_kernelINS0_14default_configENS1_22reduce_config_selectorIN6thrust23THRUST_200600_302600_NS5tupleIbffNS6_9null_typeES8_S8_S8_S8_S8_S8_EEEEZNS1_11reduce_implILb1ES3_PS9_SC_S9_12reduce_tupleIifEEE10hipError_tPvRmT1_T2_T3_mT4_P12ihipStream_tbEUlT_E1_NS1_11comp_targetILNS1_3genE2ELNS1_11target_archE906ELNS1_3gpuE6ELNS1_3repE0EEENS1_30default_config_static_selectorELNS0_4arch9wavefront6targetE0EEEvSI_.has_dyn_sized_stack, 0
	.set _ZN7rocprim17ROCPRIM_400000_NS6detail17trampoline_kernelINS0_14default_configENS1_22reduce_config_selectorIN6thrust23THRUST_200600_302600_NS5tupleIbffNS6_9null_typeES8_S8_S8_S8_S8_S8_EEEEZNS1_11reduce_implILb1ES3_PS9_SC_S9_12reduce_tupleIifEEE10hipError_tPvRmT1_T2_T3_mT4_P12ihipStream_tbEUlT_E1_NS1_11comp_targetILNS1_3genE2ELNS1_11target_archE906ELNS1_3gpuE6ELNS1_3repE0EEENS1_30default_config_static_selectorELNS0_4arch9wavefront6targetE0EEEvSI_.has_recursion, 0
	.set _ZN7rocprim17ROCPRIM_400000_NS6detail17trampoline_kernelINS0_14default_configENS1_22reduce_config_selectorIN6thrust23THRUST_200600_302600_NS5tupleIbffNS6_9null_typeES8_S8_S8_S8_S8_S8_EEEEZNS1_11reduce_implILb1ES3_PS9_SC_S9_12reduce_tupleIifEEE10hipError_tPvRmT1_T2_T3_mT4_P12ihipStream_tbEUlT_E1_NS1_11comp_targetILNS1_3genE2ELNS1_11target_archE906ELNS1_3gpuE6ELNS1_3repE0EEENS1_30default_config_static_selectorELNS0_4arch9wavefront6targetE0EEEvSI_.has_indirect_call, 0
	.section	.AMDGPU.csdata,"",@progbits
; Kernel info:
; codeLenInByte = 0
; TotalNumSgprs: 0
; NumVgprs: 0
; ScratchSize: 0
; MemoryBound: 0
; FloatMode: 240
; IeeeMode: 1
; LDSByteSize: 0 bytes/workgroup (compile time only)
; SGPRBlocks: 0
; VGPRBlocks: 0
; NumSGPRsForWavesPerEU: 1
; NumVGPRsForWavesPerEU: 1
; NamedBarCnt: 0
; Occupancy: 16
; WaveLimiterHint : 0
; COMPUTE_PGM_RSRC2:SCRATCH_EN: 0
; COMPUTE_PGM_RSRC2:USER_SGPR: 2
; COMPUTE_PGM_RSRC2:TRAP_HANDLER: 0
; COMPUTE_PGM_RSRC2:TGID_X_EN: 1
; COMPUTE_PGM_RSRC2:TGID_Y_EN: 0
; COMPUTE_PGM_RSRC2:TGID_Z_EN: 0
; COMPUTE_PGM_RSRC2:TIDIG_COMP_CNT: 0
	.section	.text._ZN7rocprim17ROCPRIM_400000_NS6detail17trampoline_kernelINS0_14default_configENS1_22reduce_config_selectorIN6thrust23THRUST_200600_302600_NS5tupleIbffNS6_9null_typeES8_S8_S8_S8_S8_S8_EEEEZNS1_11reduce_implILb1ES3_PS9_SC_S9_12reduce_tupleIifEEE10hipError_tPvRmT1_T2_T3_mT4_P12ihipStream_tbEUlT_E1_NS1_11comp_targetILNS1_3genE10ELNS1_11target_archE1201ELNS1_3gpuE5ELNS1_3repE0EEENS1_30default_config_static_selectorELNS0_4arch9wavefront6targetE0EEEvSI_,"axG",@progbits,_ZN7rocprim17ROCPRIM_400000_NS6detail17trampoline_kernelINS0_14default_configENS1_22reduce_config_selectorIN6thrust23THRUST_200600_302600_NS5tupleIbffNS6_9null_typeES8_S8_S8_S8_S8_S8_EEEEZNS1_11reduce_implILb1ES3_PS9_SC_S9_12reduce_tupleIifEEE10hipError_tPvRmT1_T2_T3_mT4_P12ihipStream_tbEUlT_E1_NS1_11comp_targetILNS1_3genE10ELNS1_11target_archE1201ELNS1_3gpuE5ELNS1_3repE0EEENS1_30default_config_static_selectorELNS0_4arch9wavefront6targetE0EEEvSI_,comdat
	.protected	_ZN7rocprim17ROCPRIM_400000_NS6detail17trampoline_kernelINS0_14default_configENS1_22reduce_config_selectorIN6thrust23THRUST_200600_302600_NS5tupleIbffNS6_9null_typeES8_S8_S8_S8_S8_S8_EEEEZNS1_11reduce_implILb1ES3_PS9_SC_S9_12reduce_tupleIifEEE10hipError_tPvRmT1_T2_T3_mT4_P12ihipStream_tbEUlT_E1_NS1_11comp_targetILNS1_3genE10ELNS1_11target_archE1201ELNS1_3gpuE5ELNS1_3repE0EEENS1_30default_config_static_selectorELNS0_4arch9wavefront6targetE0EEEvSI_ ; -- Begin function _ZN7rocprim17ROCPRIM_400000_NS6detail17trampoline_kernelINS0_14default_configENS1_22reduce_config_selectorIN6thrust23THRUST_200600_302600_NS5tupleIbffNS6_9null_typeES8_S8_S8_S8_S8_S8_EEEEZNS1_11reduce_implILb1ES3_PS9_SC_S9_12reduce_tupleIifEEE10hipError_tPvRmT1_T2_T3_mT4_P12ihipStream_tbEUlT_E1_NS1_11comp_targetILNS1_3genE10ELNS1_11target_archE1201ELNS1_3gpuE5ELNS1_3repE0EEENS1_30default_config_static_selectorELNS0_4arch9wavefront6targetE0EEEvSI_
	.globl	_ZN7rocprim17ROCPRIM_400000_NS6detail17trampoline_kernelINS0_14default_configENS1_22reduce_config_selectorIN6thrust23THRUST_200600_302600_NS5tupleIbffNS6_9null_typeES8_S8_S8_S8_S8_S8_EEEEZNS1_11reduce_implILb1ES3_PS9_SC_S9_12reduce_tupleIifEEE10hipError_tPvRmT1_T2_T3_mT4_P12ihipStream_tbEUlT_E1_NS1_11comp_targetILNS1_3genE10ELNS1_11target_archE1201ELNS1_3gpuE5ELNS1_3repE0EEENS1_30default_config_static_selectorELNS0_4arch9wavefront6targetE0EEEvSI_
	.p2align	8
	.type	_ZN7rocprim17ROCPRIM_400000_NS6detail17trampoline_kernelINS0_14default_configENS1_22reduce_config_selectorIN6thrust23THRUST_200600_302600_NS5tupleIbffNS6_9null_typeES8_S8_S8_S8_S8_S8_EEEEZNS1_11reduce_implILb1ES3_PS9_SC_S9_12reduce_tupleIifEEE10hipError_tPvRmT1_T2_T3_mT4_P12ihipStream_tbEUlT_E1_NS1_11comp_targetILNS1_3genE10ELNS1_11target_archE1201ELNS1_3gpuE5ELNS1_3repE0EEENS1_30default_config_static_selectorELNS0_4arch9wavefront6targetE0EEEvSI_,@function
_ZN7rocprim17ROCPRIM_400000_NS6detail17trampoline_kernelINS0_14default_configENS1_22reduce_config_selectorIN6thrust23THRUST_200600_302600_NS5tupleIbffNS6_9null_typeES8_S8_S8_S8_S8_S8_EEEEZNS1_11reduce_implILb1ES3_PS9_SC_S9_12reduce_tupleIifEEE10hipError_tPvRmT1_T2_T3_mT4_P12ihipStream_tbEUlT_E1_NS1_11comp_targetILNS1_3genE10ELNS1_11target_archE1201ELNS1_3gpuE5ELNS1_3repE0EEENS1_30default_config_static_selectorELNS0_4arch9wavefront6targetE0EEEvSI_: ; @_ZN7rocprim17ROCPRIM_400000_NS6detail17trampoline_kernelINS0_14default_configENS1_22reduce_config_selectorIN6thrust23THRUST_200600_302600_NS5tupleIbffNS6_9null_typeES8_S8_S8_S8_S8_S8_EEEEZNS1_11reduce_implILb1ES3_PS9_SC_S9_12reduce_tupleIifEEE10hipError_tPvRmT1_T2_T3_mT4_P12ihipStream_tbEUlT_E1_NS1_11comp_targetILNS1_3genE10ELNS1_11target_archE1201ELNS1_3gpuE5ELNS1_3repE0EEENS1_30default_config_static_selectorELNS0_4arch9wavefront6targetE0EEEvSI_
; %bb.0:
	.section	.rodata,"a",@progbits
	.p2align	6, 0x0
	.amdhsa_kernel _ZN7rocprim17ROCPRIM_400000_NS6detail17trampoline_kernelINS0_14default_configENS1_22reduce_config_selectorIN6thrust23THRUST_200600_302600_NS5tupleIbffNS6_9null_typeES8_S8_S8_S8_S8_S8_EEEEZNS1_11reduce_implILb1ES3_PS9_SC_S9_12reduce_tupleIifEEE10hipError_tPvRmT1_T2_T3_mT4_P12ihipStream_tbEUlT_E1_NS1_11comp_targetILNS1_3genE10ELNS1_11target_archE1201ELNS1_3gpuE5ELNS1_3repE0EEENS1_30default_config_static_selectorELNS0_4arch9wavefront6targetE0EEEvSI_
		.amdhsa_group_segment_fixed_size 0
		.amdhsa_private_segment_fixed_size 0
		.amdhsa_kernarg_size 48
		.amdhsa_user_sgpr_count 2
		.amdhsa_user_sgpr_dispatch_ptr 0
		.amdhsa_user_sgpr_queue_ptr 0
		.amdhsa_user_sgpr_kernarg_segment_ptr 1
		.amdhsa_user_sgpr_dispatch_id 0
		.amdhsa_user_sgpr_kernarg_preload_length 0
		.amdhsa_user_sgpr_kernarg_preload_offset 0
		.amdhsa_user_sgpr_private_segment_size 0
		.amdhsa_wavefront_size32 1
		.amdhsa_uses_dynamic_stack 0
		.amdhsa_enable_private_segment 0
		.amdhsa_system_sgpr_workgroup_id_x 1
		.amdhsa_system_sgpr_workgroup_id_y 0
		.amdhsa_system_sgpr_workgroup_id_z 0
		.amdhsa_system_sgpr_workgroup_info 0
		.amdhsa_system_vgpr_workitem_id 0
		.amdhsa_next_free_vgpr 1
		.amdhsa_next_free_sgpr 1
		.amdhsa_named_barrier_count 0
		.amdhsa_reserve_vcc 0
		.amdhsa_float_round_mode_32 0
		.amdhsa_float_round_mode_16_64 0
		.amdhsa_float_denorm_mode_32 3
		.amdhsa_float_denorm_mode_16_64 3
		.amdhsa_fp16_overflow 0
		.amdhsa_memory_ordered 1
		.amdhsa_forward_progress 1
		.amdhsa_inst_pref_size 0
		.amdhsa_round_robin_scheduling 0
		.amdhsa_exception_fp_ieee_invalid_op 0
		.amdhsa_exception_fp_denorm_src 0
		.amdhsa_exception_fp_ieee_div_zero 0
		.amdhsa_exception_fp_ieee_overflow 0
		.amdhsa_exception_fp_ieee_underflow 0
		.amdhsa_exception_fp_ieee_inexact 0
		.amdhsa_exception_int_div_zero 0
	.end_amdhsa_kernel
	.section	.text._ZN7rocprim17ROCPRIM_400000_NS6detail17trampoline_kernelINS0_14default_configENS1_22reduce_config_selectorIN6thrust23THRUST_200600_302600_NS5tupleIbffNS6_9null_typeES8_S8_S8_S8_S8_S8_EEEEZNS1_11reduce_implILb1ES3_PS9_SC_S9_12reduce_tupleIifEEE10hipError_tPvRmT1_T2_T3_mT4_P12ihipStream_tbEUlT_E1_NS1_11comp_targetILNS1_3genE10ELNS1_11target_archE1201ELNS1_3gpuE5ELNS1_3repE0EEENS1_30default_config_static_selectorELNS0_4arch9wavefront6targetE0EEEvSI_,"axG",@progbits,_ZN7rocprim17ROCPRIM_400000_NS6detail17trampoline_kernelINS0_14default_configENS1_22reduce_config_selectorIN6thrust23THRUST_200600_302600_NS5tupleIbffNS6_9null_typeES8_S8_S8_S8_S8_S8_EEEEZNS1_11reduce_implILb1ES3_PS9_SC_S9_12reduce_tupleIifEEE10hipError_tPvRmT1_T2_T3_mT4_P12ihipStream_tbEUlT_E1_NS1_11comp_targetILNS1_3genE10ELNS1_11target_archE1201ELNS1_3gpuE5ELNS1_3repE0EEENS1_30default_config_static_selectorELNS0_4arch9wavefront6targetE0EEEvSI_,comdat
.Lfunc_end15:
	.size	_ZN7rocprim17ROCPRIM_400000_NS6detail17trampoline_kernelINS0_14default_configENS1_22reduce_config_selectorIN6thrust23THRUST_200600_302600_NS5tupleIbffNS6_9null_typeES8_S8_S8_S8_S8_S8_EEEEZNS1_11reduce_implILb1ES3_PS9_SC_S9_12reduce_tupleIifEEE10hipError_tPvRmT1_T2_T3_mT4_P12ihipStream_tbEUlT_E1_NS1_11comp_targetILNS1_3genE10ELNS1_11target_archE1201ELNS1_3gpuE5ELNS1_3repE0EEENS1_30default_config_static_selectorELNS0_4arch9wavefront6targetE0EEEvSI_, .Lfunc_end15-_ZN7rocprim17ROCPRIM_400000_NS6detail17trampoline_kernelINS0_14default_configENS1_22reduce_config_selectorIN6thrust23THRUST_200600_302600_NS5tupleIbffNS6_9null_typeES8_S8_S8_S8_S8_S8_EEEEZNS1_11reduce_implILb1ES3_PS9_SC_S9_12reduce_tupleIifEEE10hipError_tPvRmT1_T2_T3_mT4_P12ihipStream_tbEUlT_E1_NS1_11comp_targetILNS1_3genE10ELNS1_11target_archE1201ELNS1_3gpuE5ELNS1_3repE0EEENS1_30default_config_static_selectorELNS0_4arch9wavefront6targetE0EEEvSI_
                                        ; -- End function
	.set _ZN7rocprim17ROCPRIM_400000_NS6detail17trampoline_kernelINS0_14default_configENS1_22reduce_config_selectorIN6thrust23THRUST_200600_302600_NS5tupleIbffNS6_9null_typeES8_S8_S8_S8_S8_S8_EEEEZNS1_11reduce_implILb1ES3_PS9_SC_S9_12reduce_tupleIifEEE10hipError_tPvRmT1_T2_T3_mT4_P12ihipStream_tbEUlT_E1_NS1_11comp_targetILNS1_3genE10ELNS1_11target_archE1201ELNS1_3gpuE5ELNS1_3repE0EEENS1_30default_config_static_selectorELNS0_4arch9wavefront6targetE0EEEvSI_.num_vgpr, 0
	.set _ZN7rocprim17ROCPRIM_400000_NS6detail17trampoline_kernelINS0_14default_configENS1_22reduce_config_selectorIN6thrust23THRUST_200600_302600_NS5tupleIbffNS6_9null_typeES8_S8_S8_S8_S8_S8_EEEEZNS1_11reduce_implILb1ES3_PS9_SC_S9_12reduce_tupleIifEEE10hipError_tPvRmT1_T2_T3_mT4_P12ihipStream_tbEUlT_E1_NS1_11comp_targetILNS1_3genE10ELNS1_11target_archE1201ELNS1_3gpuE5ELNS1_3repE0EEENS1_30default_config_static_selectorELNS0_4arch9wavefront6targetE0EEEvSI_.num_agpr, 0
	.set _ZN7rocprim17ROCPRIM_400000_NS6detail17trampoline_kernelINS0_14default_configENS1_22reduce_config_selectorIN6thrust23THRUST_200600_302600_NS5tupleIbffNS6_9null_typeES8_S8_S8_S8_S8_S8_EEEEZNS1_11reduce_implILb1ES3_PS9_SC_S9_12reduce_tupleIifEEE10hipError_tPvRmT1_T2_T3_mT4_P12ihipStream_tbEUlT_E1_NS1_11comp_targetILNS1_3genE10ELNS1_11target_archE1201ELNS1_3gpuE5ELNS1_3repE0EEENS1_30default_config_static_selectorELNS0_4arch9wavefront6targetE0EEEvSI_.numbered_sgpr, 0
	.set _ZN7rocprim17ROCPRIM_400000_NS6detail17trampoline_kernelINS0_14default_configENS1_22reduce_config_selectorIN6thrust23THRUST_200600_302600_NS5tupleIbffNS6_9null_typeES8_S8_S8_S8_S8_S8_EEEEZNS1_11reduce_implILb1ES3_PS9_SC_S9_12reduce_tupleIifEEE10hipError_tPvRmT1_T2_T3_mT4_P12ihipStream_tbEUlT_E1_NS1_11comp_targetILNS1_3genE10ELNS1_11target_archE1201ELNS1_3gpuE5ELNS1_3repE0EEENS1_30default_config_static_selectorELNS0_4arch9wavefront6targetE0EEEvSI_.num_named_barrier, 0
	.set _ZN7rocprim17ROCPRIM_400000_NS6detail17trampoline_kernelINS0_14default_configENS1_22reduce_config_selectorIN6thrust23THRUST_200600_302600_NS5tupleIbffNS6_9null_typeES8_S8_S8_S8_S8_S8_EEEEZNS1_11reduce_implILb1ES3_PS9_SC_S9_12reduce_tupleIifEEE10hipError_tPvRmT1_T2_T3_mT4_P12ihipStream_tbEUlT_E1_NS1_11comp_targetILNS1_3genE10ELNS1_11target_archE1201ELNS1_3gpuE5ELNS1_3repE0EEENS1_30default_config_static_selectorELNS0_4arch9wavefront6targetE0EEEvSI_.private_seg_size, 0
	.set _ZN7rocprim17ROCPRIM_400000_NS6detail17trampoline_kernelINS0_14default_configENS1_22reduce_config_selectorIN6thrust23THRUST_200600_302600_NS5tupleIbffNS6_9null_typeES8_S8_S8_S8_S8_S8_EEEEZNS1_11reduce_implILb1ES3_PS9_SC_S9_12reduce_tupleIifEEE10hipError_tPvRmT1_T2_T3_mT4_P12ihipStream_tbEUlT_E1_NS1_11comp_targetILNS1_3genE10ELNS1_11target_archE1201ELNS1_3gpuE5ELNS1_3repE0EEENS1_30default_config_static_selectorELNS0_4arch9wavefront6targetE0EEEvSI_.uses_vcc, 0
	.set _ZN7rocprim17ROCPRIM_400000_NS6detail17trampoline_kernelINS0_14default_configENS1_22reduce_config_selectorIN6thrust23THRUST_200600_302600_NS5tupleIbffNS6_9null_typeES8_S8_S8_S8_S8_S8_EEEEZNS1_11reduce_implILb1ES3_PS9_SC_S9_12reduce_tupleIifEEE10hipError_tPvRmT1_T2_T3_mT4_P12ihipStream_tbEUlT_E1_NS1_11comp_targetILNS1_3genE10ELNS1_11target_archE1201ELNS1_3gpuE5ELNS1_3repE0EEENS1_30default_config_static_selectorELNS0_4arch9wavefront6targetE0EEEvSI_.uses_flat_scratch, 0
	.set _ZN7rocprim17ROCPRIM_400000_NS6detail17trampoline_kernelINS0_14default_configENS1_22reduce_config_selectorIN6thrust23THRUST_200600_302600_NS5tupleIbffNS6_9null_typeES8_S8_S8_S8_S8_S8_EEEEZNS1_11reduce_implILb1ES3_PS9_SC_S9_12reduce_tupleIifEEE10hipError_tPvRmT1_T2_T3_mT4_P12ihipStream_tbEUlT_E1_NS1_11comp_targetILNS1_3genE10ELNS1_11target_archE1201ELNS1_3gpuE5ELNS1_3repE0EEENS1_30default_config_static_selectorELNS0_4arch9wavefront6targetE0EEEvSI_.has_dyn_sized_stack, 0
	.set _ZN7rocprim17ROCPRIM_400000_NS6detail17trampoline_kernelINS0_14default_configENS1_22reduce_config_selectorIN6thrust23THRUST_200600_302600_NS5tupleIbffNS6_9null_typeES8_S8_S8_S8_S8_S8_EEEEZNS1_11reduce_implILb1ES3_PS9_SC_S9_12reduce_tupleIifEEE10hipError_tPvRmT1_T2_T3_mT4_P12ihipStream_tbEUlT_E1_NS1_11comp_targetILNS1_3genE10ELNS1_11target_archE1201ELNS1_3gpuE5ELNS1_3repE0EEENS1_30default_config_static_selectorELNS0_4arch9wavefront6targetE0EEEvSI_.has_recursion, 0
	.set _ZN7rocprim17ROCPRIM_400000_NS6detail17trampoline_kernelINS0_14default_configENS1_22reduce_config_selectorIN6thrust23THRUST_200600_302600_NS5tupleIbffNS6_9null_typeES8_S8_S8_S8_S8_S8_EEEEZNS1_11reduce_implILb1ES3_PS9_SC_S9_12reduce_tupleIifEEE10hipError_tPvRmT1_T2_T3_mT4_P12ihipStream_tbEUlT_E1_NS1_11comp_targetILNS1_3genE10ELNS1_11target_archE1201ELNS1_3gpuE5ELNS1_3repE0EEENS1_30default_config_static_selectorELNS0_4arch9wavefront6targetE0EEEvSI_.has_indirect_call, 0
	.section	.AMDGPU.csdata,"",@progbits
; Kernel info:
; codeLenInByte = 0
; TotalNumSgprs: 0
; NumVgprs: 0
; ScratchSize: 0
; MemoryBound: 0
; FloatMode: 240
; IeeeMode: 1
; LDSByteSize: 0 bytes/workgroup (compile time only)
; SGPRBlocks: 0
; VGPRBlocks: 0
; NumSGPRsForWavesPerEU: 1
; NumVGPRsForWavesPerEU: 1
; NamedBarCnt: 0
; Occupancy: 16
; WaveLimiterHint : 0
; COMPUTE_PGM_RSRC2:SCRATCH_EN: 0
; COMPUTE_PGM_RSRC2:USER_SGPR: 2
; COMPUTE_PGM_RSRC2:TRAP_HANDLER: 0
; COMPUTE_PGM_RSRC2:TGID_X_EN: 1
; COMPUTE_PGM_RSRC2:TGID_Y_EN: 0
; COMPUTE_PGM_RSRC2:TGID_Z_EN: 0
; COMPUTE_PGM_RSRC2:TIDIG_COMP_CNT: 0
	.section	.text._ZN7rocprim17ROCPRIM_400000_NS6detail17trampoline_kernelINS0_14default_configENS1_22reduce_config_selectorIN6thrust23THRUST_200600_302600_NS5tupleIbffNS6_9null_typeES8_S8_S8_S8_S8_S8_EEEEZNS1_11reduce_implILb1ES3_PS9_SC_S9_12reduce_tupleIifEEE10hipError_tPvRmT1_T2_T3_mT4_P12ihipStream_tbEUlT_E1_NS1_11comp_targetILNS1_3genE10ELNS1_11target_archE1200ELNS1_3gpuE4ELNS1_3repE0EEENS1_30default_config_static_selectorELNS0_4arch9wavefront6targetE0EEEvSI_,"axG",@progbits,_ZN7rocprim17ROCPRIM_400000_NS6detail17trampoline_kernelINS0_14default_configENS1_22reduce_config_selectorIN6thrust23THRUST_200600_302600_NS5tupleIbffNS6_9null_typeES8_S8_S8_S8_S8_S8_EEEEZNS1_11reduce_implILb1ES3_PS9_SC_S9_12reduce_tupleIifEEE10hipError_tPvRmT1_T2_T3_mT4_P12ihipStream_tbEUlT_E1_NS1_11comp_targetILNS1_3genE10ELNS1_11target_archE1200ELNS1_3gpuE4ELNS1_3repE0EEENS1_30default_config_static_selectorELNS0_4arch9wavefront6targetE0EEEvSI_,comdat
	.protected	_ZN7rocprim17ROCPRIM_400000_NS6detail17trampoline_kernelINS0_14default_configENS1_22reduce_config_selectorIN6thrust23THRUST_200600_302600_NS5tupleIbffNS6_9null_typeES8_S8_S8_S8_S8_S8_EEEEZNS1_11reduce_implILb1ES3_PS9_SC_S9_12reduce_tupleIifEEE10hipError_tPvRmT1_T2_T3_mT4_P12ihipStream_tbEUlT_E1_NS1_11comp_targetILNS1_3genE10ELNS1_11target_archE1200ELNS1_3gpuE4ELNS1_3repE0EEENS1_30default_config_static_selectorELNS0_4arch9wavefront6targetE0EEEvSI_ ; -- Begin function _ZN7rocprim17ROCPRIM_400000_NS6detail17trampoline_kernelINS0_14default_configENS1_22reduce_config_selectorIN6thrust23THRUST_200600_302600_NS5tupleIbffNS6_9null_typeES8_S8_S8_S8_S8_S8_EEEEZNS1_11reduce_implILb1ES3_PS9_SC_S9_12reduce_tupleIifEEE10hipError_tPvRmT1_T2_T3_mT4_P12ihipStream_tbEUlT_E1_NS1_11comp_targetILNS1_3genE10ELNS1_11target_archE1200ELNS1_3gpuE4ELNS1_3repE0EEENS1_30default_config_static_selectorELNS0_4arch9wavefront6targetE0EEEvSI_
	.globl	_ZN7rocprim17ROCPRIM_400000_NS6detail17trampoline_kernelINS0_14default_configENS1_22reduce_config_selectorIN6thrust23THRUST_200600_302600_NS5tupleIbffNS6_9null_typeES8_S8_S8_S8_S8_S8_EEEEZNS1_11reduce_implILb1ES3_PS9_SC_S9_12reduce_tupleIifEEE10hipError_tPvRmT1_T2_T3_mT4_P12ihipStream_tbEUlT_E1_NS1_11comp_targetILNS1_3genE10ELNS1_11target_archE1200ELNS1_3gpuE4ELNS1_3repE0EEENS1_30default_config_static_selectorELNS0_4arch9wavefront6targetE0EEEvSI_
	.p2align	8
	.type	_ZN7rocprim17ROCPRIM_400000_NS6detail17trampoline_kernelINS0_14default_configENS1_22reduce_config_selectorIN6thrust23THRUST_200600_302600_NS5tupleIbffNS6_9null_typeES8_S8_S8_S8_S8_S8_EEEEZNS1_11reduce_implILb1ES3_PS9_SC_S9_12reduce_tupleIifEEE10hipError_tPvRmT1_T2_T3_mT4_P12ihipStream_tbEUlT_E1_NS1_11comp_targetILNS1_3genE10ELNS1_11target_archE1200ELNS1_3gpuE4ELNS1_3repE0EEENS1_30default_config_static_selectorELNS0_4arch9wavefront6targetE0EEEvSI_,@function
_ZN7rocprim17ROCPRIM_400000_NS6detail17trampoline_kernelINS0_14default_configENS1_22reduce_config_selectorIN6thrust23THRUST_200600_302600_NS5tupleIbffNS6_9null_typeES8_S8_S8_S8_S8_S8_EEEEZNS1_11reduce_implILb1ES3_PS9_SC_S9_12reduce_tupleIifEEE10hipError_tPvRmT1_T2_T3_mT4_P12ihipStream_tbEUlT_E1_NS1_11comp_targetILNS1_3genE10ELNS1_11target_archE1200ELNS1_3gpuE4ELNS1_3repE0EEENS1_30default_config_static_selectorELNS0_4arch9wavefront6targetE0EEEvSI_: ; @_ZN7rocprim17ROCPRIM_400000_NS6detail17trampoline_kernelINS0_14default_configENS1_22reduce_config_selectorIN6thrust23THRUST_200600_302600_NS5tupleIbffNS6_9null_typeES8_S8_S8_S8_S8_S8_EEEEZNS1_11reduce_implILb1ES3_PS9_SC_S9_12reduce_tupleIifEEE10hipError_tPvRmT1_T2_T3_mT4_P12ihipStream_tbEUlT_E1_NS1_11comp_targetILNS1_3genE10ELNS1_11target_archE1200ELNS1_3gpuE4ELNS1_3repE0EEENS1_30default_config_static_selectorELNS0_4arch9wavefront6targetE0EEEvSI_
; %bb.0:
	.section	.rodata,"a",@progbits
	.p2align	6, 0x0
	.amdhsa_kernel _ZN7rocprim17ROCPRIM_400000_NS6detail17trampoline_kernelINS0_14default_configENS1_22reduce_config_selectorIN6thrust23THRUST_200600_302600_NS5tupleIbffNS6_9null_typeES8_S8_S8_S8_S8_S8_EEEEZNS1_11reduce_implILb1ES3_PS9_SC_S9_12reduce_tupleIifEEE10hipError_tPvRmT1_T2_T3_mT4_P12ihipStream_tbEUlT_E1_NS1_11comp_targetILNS1_3genE10ELNS1_11target_archE1200ELNS1_3gpuE4ELNS1_3repE0EEENS1_30default_config_static_selectorELNS0_4arch9wavefront6targetE0EEEvSI_
		.amdhsa_group_segment_fixed_size 0
		.amdhsa_private_segment_fixed_size 0
		.amdhsa_kernarg_size 48
		.amdhsa_user_sgpr_count 2
		.amdhsa_user_sgpr_dispatch_ptr 0
		.amdhsa_user_sgpr_queue_ptr 0
		.amdhsa_user_sgpr_kernarg_segment_ptr 1
		.amdhsa_user_sgpr_dispatch_id 0
		.amdhsa_user_sgpr_kernarg_preload_length 0
		.amdhsa_user_sgpr_kernarg_preload_offset 0
		.amdhsa_user_sgpr_private_segment_size 0
		.amdhsa_wavefront_size32 1
		.amdhsa_uses_dynamic_stack 0
		.amdhsa_enable_private_segment 0
		.amdhsa_system_sgpr_workgroup_id_x 1
		.amdhsa_system_sgpr_workgroup_id_y 0
		.amdhsa_system_sgpr_workgroup_id_z 0
		.amdhsa_system_sgpr_workgroup_info 0
		.amdhsa_system_vgpr_workitem_id 0
		.amdhsa_next_free_vgpr 1
		.amdhsa_next_free_sgpr 1
		.amdhsa_named_barrier_count 0
		.amdhsa_reserve_vcc 0
		.amdhsa_float_round_mode_32 0
		.amdhsa_float_round_mode_16_64 0
		.amdhsa_float_denorm_mode_32 3
		.amdhsa_float_denorm_mode_16_64 3
		.amdhsa_fp16_overflow 0
		.amdhsa_memory_ordered 1
		.amdhsa_forward_progress 1
		.amdhsa_inst_pref_size 0
		.amdhsa_round_robin_scheduling 0
		.amdhsa_exception_fp_ieee_invalid_op 0
		.amdhsa_exception_fp_denorm_src 0
		.amdhsa_exception_fp_ieee_div_zero 0
		.amdhsa_exception_fp_ieee_overflow 0
		.amdhsa_exception_fp_ieee_underflow 0
		.amdhsa_exception_fp_ieee_inexact 0
		.amdhsa_exception_int_div_zero 0
	.end_amdhsa_kernel
	.section	.text._ZN7rocprim17ROCPRIM_400000_NS6detail17trampoline_kernelINS0_14default_configENS1_22reduce_config_selectorIN6thrust23THRUST_200600_302600_NS5tupleIbffNS6_9null_typeES8_S8_S8_S8_S8_S8_EEEEZNS1_11reduce_implILb1ES3_PS9_SC_S9_12reduce_tupleIifEEE10hipError_tPvRmT1_T2_T3_mT4_P12ihipStream_tbEUlT_E1_NS1_11comp_targetILNS1_3genE10ELNS1_11target_archE1200ELNS1_3gpuE4ELNS1_3repE0EEENS1_30default_config_static_selectorELNS0_4arch9wavefront6targetE0EEEvSI_,"axG",@progbits,_ZN7rocprim17ROCPRIM_400000_NS6detail17trampoline_kernelINS0_14default_configENS1_22reduce_config_selectorIN6thrust23THRUST_200600_302600_NS5tupleIbffNS6_9null_typeES8_S8_S8_S8_S8_S8_EEEEZNS1_11reduce_implILb1ES3_PS9_SC_S9_12reduce_tupleIifEEE10hipError_tPvRmT1_T2_T3_mT4_P12ihipStream_tbEUlT_E1_NS1_11comp_targetILNS1_3genE10ELNS1_11target_archE1200ELNS1_3gpuE4ELNS1_3repE0EEENS1_30default_config_static_selectorELNS0_4arch9wavefront6targetE0EEEvSI_,comdat
.Lfunc_end16:
	.size	_ZN7rocprim17ROCPRIM_400000_NS6detail17trampoline_kernelINS0_14default_configENS1_22reduce_config_selectorIN6thrust23THRUST_200600_302600_NS5tupleIbffNS6_9null_typeES8_S8_S8_S8_S8_S8_EEEEZNS1_11reduce_implILb1ES3_PS9_SC_S9_12reduce_tupleIifEEE10hipError_tPvRmT1_T2_T3_mT4_P12ihipStream_tbEUlT_E1_NS1_11comp_targetILNS1_3genE10ELNS1_11target_archE1200ELNS1_3gpuE4ELNS1_3repE0EEENS1_30default_config_static_selectorELNS0_4arch9wavefront6targetE0EEEvSI_, .Lfunc_end16-_ZN7rocprim17ROCPRIM_400000_NS6detail17trampoline_kernelINS0_14default_configENS1_22reduce_config_selectorIN6thrust23THRUST_200600_302600_NS5tupleIbffNS6_9null_typeES8_S8_S8_S8_S8_S8_EEEEZNS1_11reduce_implILb1ES3_PS9_SC_S9_12reduce_tupleIifEEE10hipError_tPvRmT1_T2_T3_mT4_P12ihipStream_tbEUlT_E1_NS1_11comp_targetILNS1_3genE10ELNS1_11target_archE1200ELNS1_3gpuE4ELNS1_3repE0EEENS1_30default_config_static_selectorELNS0_4arch9wavefront6targetE0EEEvSI_
                                        ; -- End function
	.set _ZN7rocprim17ROCPRIM_400000_NS6detail17trampoline_kernelINS0_14default_configENS1_22reduce_config_selectorIN6thrust23THRUST_200600_302600_NS5tupleIbffNS6_9null_typeES8_S8_S8_S8_S8_S8_EEEEZNS1_11reduce_implILb1ES3_PS9_SC_S9_12reduce_tupleIifEEE10hipError_tPvRmT1_T2_T3_mT4_P12ihipStream_tbEUlT_E1_NS1_11comp_targetILNS1_3genE10ELNS1_11target_archE1200ELNS1_3gpuE4ELNS1_3repE0EEENS1_30default_config_static_selectorELNS0_4arch9wavefront6targetE0EEEvSI_.num_vgpr, 0
	.set _ZN7rocprim17ROCPRIM_400000_NS6detail17trampoline_kernelINS0_14default_configENS1_22reduce_config_selectorIN6thrust23THRUST_200600_302600_NS5tupleIbffNS6_9null_typeES8_S8_S8_S8_S8_S8_EEEEZNS1_11reduce_implILb1ES3_PS9_SC_S9_12reduce_tupleIifEEE10hipError_tPvRmT1_T2_T3_mT4_P12ihipStream_tbEUlT_E1_NS1_11comp_targetILNS1_3genE10ELNS1_11target_archE1200ELNS1_3gpuE4ELNS1_3repE0EEENS1_30default_config_static_selectorELNS0_4arch9wavefront6targetE0EEEvSI_.num_agpr, 0
	.set _ZN7rocprim17ROCPRIM_400000_NS6detail17trampoline_kernelINS0_14default_configENS1_22reduce_config_selectorIN6thrust23THRUST_200600_302600_NS5tupleIbffNS6_9null_typeES8_S8_S8_S8_S8_S8_EEEEZNS1_11reduce_implILb1ES3_PS9_SC_S9_12reduce_tupleIifEEE10hipError_tPvRmT1_T2_T3_mT4_P12ihipStream_tbEUlT_E1_NS1_11comp_targetILNS1_3genE10ELNS1_11target_archE1200ELNS1_3gpuE4ELNS1_3repE0EEENS1_30default_config_static_selectorELNS0_4arch9wavefront6targetE0EEEvSI_.numbered_sgpr, 0
	.set _ZN7rocprim17ROCPRIM_400000_NS6detail17trampoline_kernelINS0_14default_configENS1_22reduce_config_selectorIN6thrust23THRUST_200600_302600_NS5tupleIbffNS6_9null_typeES8_S8_S8_S8_S8_S8_EEEEZNS1_11reduce_implILb1ES3_PS9_SC_S9_12reduce_tupleIifEEE10hipError_tPvRmT1_T2_T3_mT4_P12ihipStream_tbEUlT_E1_NS1_11comp_targetILNS1_3genE10ELNS1_11target_archE1200ELNS1_3gpuE4ELNS1_3repE0EEENS1_30default_config_static_selectorELNS0_4arch9wavefront6targetE0EEEvSI_.num_named_barrier, 0
	.set _ZN7rocprim17ROCPRIM_400000_NS6detail17trampoline_kernelINS0_14default_configENS1_22reduce_config_selectorIN6thrust23THRUST_200600_302600_NS5tupleIbffNS6_9null_typeES8_S8_S8_S8_S8_S8_EEEEZNS1_11reduce_implILb1ES3_PS9_SC_S9_12reduce_tupleIifEEE10hipError_tPvRmT1_T2_T3_mT4_P12ihipStream_tbEUlT_E1_NS1_11comp_targetILNS1_3genE10ELNS1_11target_archE1200ELNS1_3gpuE4ELNS1_3repE0EEENS1_30default_config_static_selectorELNS0_4arch9wavefront6targetE0EEEvSI_.private_seg_size, 0
	.set _ZN7rocprim17ROCPRIM_400000_NS6detail17trampoline_kernelINS0_14default_configENS1_22reduce_config_selectorIN6thrust23THRUST_200600_302600_NS5tupleIbffNS6_9null_typeES8_S8_S8_S8_S8_S8_EEEEZNS1_11reduce_implILb1ES3_PS9_SC_S9_12reduce_tupleIifEEE10hipError_tPvRmT1_T2_T3_mT4_P12ihipStream_tbEUlT_E1_NS1_11comp_targetILNS1_3genE10ELNS1_11target_archE1200ELNS1_3gpuE4ELNS1_3repE0EEENS1_30default_config_static_selectorELNS0_4arch9wavefront6targetE0EEEvSI_.uses_vcc, 0
	.set _ZN7rocprim17ROCPRIM_400000_NS6detail17trampoline_kernelINS0_14default_configENS1_22reduce_config_selectorIN6thrust23THRUST_200600_302600_NS5tupleIbffNS6_9null_typeES8_S8_S8_S8_S8_S8_EEEEZNS1_11reduce_implILb1ES3_PS9_SC_S9_12reduce_tupleIifEEE10hipError_tPvRmT1_T2_T3_mT4_P12ihipStream_tbEUlT_E1_NS1_11comp_targetILNS1_3genE10ELNS1_11target_archE1200ELNS1_3gpuE4ELNS1_3repE0EEENS1_30default_config_static_selectorELNS0_4arch9wavefront6targetE0EEEvSI_.uses_flat_scratch, 0
	.set _ZN7rocprim17ROCPRIM_400000_NS6detail17trampoline_kernelINS0_14default_configENS1_22reduce_config_selectorIN6thrust23THRUST_200600_302600_NS5tupleIbffNS6_9null_typeES8_S8_S8_S8_S8_S8_EEEEZNS1_11reduce_implILb1ES3_PS9_SC_S9_12reduce_tupleIifEEE10hipError_tPvRmT1_T2_T3_mT4_P12ihipStream_tbEUlT_E1_NS1_11comp_targetILNS1_3genE10ELNS1_11target_archE1200ELNS1_3gpuE4ELNS1_3repE0EEENS1_30default_config_static_selectorELNS0_4arch9wavefront6targetE0EEEvSI_.has_dyn_sized_stack, 0
	.set _ZN7rocprim17ROCPRIM_400000_NS6detail17trampoline_kernelINS0_14default_configENS1_22reduce_config_selectorIN6thrust23THRUST_200600_302600_NS5tupleIbffNS6_9null_typeES8_S8_S8_S8_S8_S8_EEEEZNS1_11reduce_implILb1ES3_PS9_SC_S9_12reduce_tupleIifEEE10hipError_tPvRmT1_T2_T3_mT4_P12ihipStream_tbEUlT_E1_NS1_11comp_targetILNS1_3genE10ELNS1_11target_archE1200ELNS1_3gpuE4ELNS1_3repE0EEENS1_30default_config_static_selectorELNS0_4arch9wavefront6targetE0EEEvSI_.has_recursion, 0
	.set _ZN7rocprim17ROCPRIM_400000_NS6detail17trampoline_kernelINS0_14default_configENS1_22reduce_config_selectorIN6thrust23THRUST_200600_302600_NS5tupleIbffNS6_9null_typeES8_S8_S8_S8_S8_S8_EEEEZNS1_11reduce_implILb1ES3_PS9_SC_S9_12reduce_tupleIifEEE10hipError_tPvRmT1_T2_T3_mT4_P12ihipStream_tbEUlT_E1_NS1_11comp_targetILNS1_3genE10ELNS1_11target_archE1200ELNS1_3gpuE4ELNS1_3repE0EEENS1_30default_config_static_selectorELNS0_4arch9wavefront6targetE0EEEvSI_.has_indirect_call, 0
	.section	.AMDGPU.csdata,"",@progbits
; Kernel info:
; codeLenInByte = 0
; TotalNumSgprs: 0
; NumVgprs: 0
; ScratchSize: 0
; MemoryBound: 0
; FloatMode: 240
; IeeeMode: 1
; LDSByteSize: 0 bytes/workgroup (compile time only)
; SGPRBlocks: 0
; VGPRBlocks: 0
; NumSGPRsForWavesPerEU: 1
; NumVGPRsForWavesPerEU: 1
; NamedBarCnt: 0
; Occupancy: 16
; WaveLimiterHint : 0
; COMPUTE_PGM_RSRC2:SCRATCH_EN: 0
; COMPUTE_PGM_RSRC2:USER_SGPR: 2
; COMPUTE_PGM_RSRC2:TRAP_HANDLER: 0
; COMPUTE_PGM_RSRC2:TGID_X_EN: 1
; COMPUTE_PGM_RSRC2:TGID_Y_EN: 0
; COMPUTE_PGM_RSRC2:TGID_Z_EN: 0
; COMPUTE_PGM_RSRC2:TIDIG_COMP_CNT: 0
	.section	.text._ZN7rocprim17ROCPRIM_400000_NS6detail17trampoline_kernelINS0_14default_configENS1_22reduce_config_selectorIN6thrust23THRUST_200600_302600_NS5tupleIbffNS6_9null_typeES8_S8_S8_S8_S8_S8_EEEEZNS1_11reduce_implILb1ES3_PS9_SC_S9_12reduce_tupleIifEEE10hipError_tPvRmT1_T2_T3_mT4_P12ihipStream_tbEUlT_E1_NS1_11comp_targetILNS1_3genE9ELNS1_11target_archE1100ELNS1_3gpuE3ELNS1_3repE0EEENS1_30default_config_static_selectorELNS0_4arch9wavefront6targetE0EEEvSI_,"axG",@progbits,_ZN7rocprim17ROCPRIM_400000_NS6detail17trampoline_kernelINS0_14default_configENS1_22reduce_config_selectorIN6thrust23THRUST_200600_302600_NS5tupleIbffNS6_9null_typeES8_S8_S8_S8_S8_S8_EEEEZNS1_11reduce_implILb1ES3_PS9_SC_S9_12reduce_tupleIifEEE10hipError_tPvRmT1_T2_T3_mT4_P12ihipStream_tbEUlT_E1_NS1_11comp_targetILNS1_3genE9ELNS1_11target_archE1100ELNS1_3gpuE3ELNS1_3repE0EEENS1_30default_config_static_selectorELNS0_4arch9wavefront6targetE0EEEvSI_,comdat
	.protected	_ZN7rocprim17ROCPRIM_400000_NS6detail17trampoline_kernelINS0_14default_configENS1_22reduce_config_selectorIN6thrust23THRUST_200600_302600_NS5tupleIbffNS6_9null_typeES8_S8_S8_S8_S8_S8_EEEEZNS1_11reduce_implILb1ES3_PS9_SC_S9_12reduce_tupleIifEEE10hipError_tPvRmT1_T2_T3_mT4_P12ihipStream_tbEUlT_E1_NS1_11comp_targetILNS1_3genE9ELNS1_11target_archE1100ELNS1_3gpuE3ELNS1_3repE0EEENS1_30default_config_static_selectorELNS0_4arch9wavefront6targetE0EEEvSI_ ; -- Begin function _ZN7rocprim17ROCPRIM_400000_NS6detail17trampoline_kernelINS0_14default_configENS1_22reduce_config_selectorIN6thrust23THRUST_200600_302600_NS5tupleIbffNS6_9null_typeES8_S8_S8_S8_S8_S8_EEEEZNS1_11reduce_implILb1ES3_PS9_SC_S9_12reduce_tupleIifEEE10hipError_tPvRmT1_T2_T3_mT4_P12ihipStream_tbEUlT_E1_NS1_11comp_targetILNS1_3genE9ELNS1_11target_archE1100ELNS1_3gpuE3ELNS1_3repE0EEENS1_30default_config_static_selectorELNS0_4arch9wavefront6targetE0EEEvSI_
	.globl	_ZN7rocprim17ROCPRIM_400000_NS6detail17trampoline_kernelINS0_14default_configENS1_22reduce_config_selectorIN6thrust23THRUST_200600_302600_NS5tupleIbffNS6_9null_typeES8_S8_S8_S8_S8_S8_EEEEZNS1_11reduce_implILb1ES3_PS9_SC_S9_12reduce_tupleIifEEE10hipError_tPvRmT1_T2_T3_mT4_P12ihipStream_tbEUlT_E1_NS1_11comp_targetILNS1_3genE9ELNS1_11target_archE1100ELNS1_3gpuE3ELNS1_3repE0EEENS1_30default_config_static_selectorELNS0_4arch9wavefront6targetE0EEEvSI_
	.p2align	8
	.type	_ZN7rocprim17ROCPRIM_400000_NS6detail17trampoline_kernelINS0_14default_configENS1_22reduce_config_selectorIN6thrust23THRUST_200600_302600_NS5tupleIbffNS6_9null_typeES8_S8_S8_S8_S8_S8_EEEEZNS1_11reduce_implILb1ES3_PS9_SC_S9_12reduce_tupleIifEEE10hipError_tPvRmT1_T2_T3_mT4_P12ihipStream_tbEUlT_E1_NS1_11comp_targetILNS1_3genE9ELNS1_11target_archE1100ELNS1_3gpuE3ELNS1_3repE0EEENS1_30default_config_static_selectorELNS0_4arch9wavefront6targetE0EEEvSI_,@function
_ZN7rocprim17ROCPRIM_400000_NS6detail17trampoline_kernelINS0_14default_configENS1_22reduce_config_selectorIN6thrust23THRUST_200600_302600_NS5tupleIbffNS6_9null_typeES8_S8_S8_S8_S8_S8_EEEEZNS1_11reduce_implILb1ES3_PS9_SC_S9_12reduce_tupleIifEEE10hipError_tPvRmT1_T2_T3_mT4_P12ihipStream_tbEUlT_E1_NS1_11comp_targetILNS1_3genE9ELNS1_11target_archE1100ELNS1_3gpuE3ELNS1_3repE0EEENS1_30default_config_static_selectorELNS0_4arch9wavefront6targetE0EEEvSI_: ; @_ZN7rocprim17ROCPRIM_400000_NS6detail17trampoline_kernelINS0_14default_configENS1_22reduce_config_selectorIN6thrust23THRUST_200600_302600_NS5tupleIbffNS6_9null_typeES8_S8_S8_S8_S8_S8_EEEEZNS1_11reduce_implILb1ES3_PS9_SC_S9_12reduce_tupleIifEEE10hipError_tPvRmT1_T2_T3_mT4_P12ihipStream_tbEUlT_E1_NS1_11comp_targetILNS1_3genE9ELNS1_11target_archE1100ELNS1_3gpuE3ELNS1_3repE0EEENS1_30default_config_static_selectorELNS0_4arch9wavefront6targetE0EEEvSI_
; %bb.0:
	.section	.rodata,"a",@progbits
	.p2align	6, 0x0
	.amdhsa_kernel _ZN7rocprim17ROCPRIM_400000_NS6detail17trampoline_kernelINS0_14default_configENS1_22reduce_config_selectorIN6thrust23THRUST_200600_302600_NS5tupleIbffNS6_9null_typeES8_S8_S8_S8_S8_S8_EEEEZNS1_11reduce_implILb1ES3_PS9_SC_S9_12reduce_tupleIifEEE10hipError_tPvRmT1_T2_T3_mT4_P12ihipStream_tbEUlT_E1_NS1_11comp_targetILNS1_3genE9ELNS1_11target_archE1100ELNS1_3gpuE3ELNS1_3repE0EEENS1_30default_config_static_selectorELNS0_4arch9wavefront6targetE0EEEvSI_
		.amdhsa_group_segment_fixed_size 0
		.amdhsa_private_segment_fixed_size 0
		.amdhsa_kernarg_size 48
		.amdhsa_user_sgpr_count 2
		.amdhsa_user_sgpr_dispatch_ptr 0
		.amdhsa_user_sgpr_queue_ptr 0
		.amdhsa_user_sgpr_kernarg_segment_ptr 1
		.amdhsa_user_sgpr_dispatch_id 0
		.amdhsa_user_sgpr_kernarg_preload_length 0
		.amdhsa_user_sgpr_kernarg_preload_offset 0
		.amdhsa_user_sgpr_private_segment_size 0
		.amdhsa_wavefront_size32 1
		.amdhsa_uses_dynamic_stack 0
		.amdhsa_enable_private_segment 0
		.amdhsa_system_sgpr_workgroup_id_x 1
		.amdhsa_system_sgpr_workgroup_id_y 0
		.amdhsa_system_sgpr_workgroup_id_z 0
		.amdhsa_system_sgpr_workgroup_info 0
		.amdhsa_system_vgpr_workitem_id 0
		.amdhsa_next_free_vgpr 1
		.amdhsa_next_free_sgpr 1
		.amdhsa_named_barrier_count 0
		.amdhsa_reserve_vcc 0
		.amdhsa_float_round_mode_32 0
		.amdhsa_float_round_mode_16_64 0
		.amdhsa_float_denorm_mode_32 3
		.amdhsa_float_denorm_mode_16_64 3
		.amdhsa_fp16_overflow 0
		.amdhsa_memory_ordered 1
		.amdhsa_forward_progress 1
		.amdhsa_inst_pref_size 0
		.amdhsa_round_robin_scheduling 0
		.amdhsa_exception_fp_ieee_invalid_op 0
		.amdhsa_exception_fp_denorm_src 0
		.amdhsa_exception_fp_ieee_div_zero 0
		.amdhsa_exception_fp_ieee_overflow 0
		.amdhsa_exception_fp_ieee_underflow 0
		.amdhsa_exception_fp_ieee_inexact 0
		.amdhsa_exception_int_div_zero 0
	.end_amdhsa_kernel
	.section	.text._ZN7rocprim17ROCPRIM_400000_NS6detail17trampoline_kernelINS0_14default_configENS1_22reduce_config_selectorIN6thrust23THRUST_200600_302600_NS5tupleIbffNS6_9null_typeES8_S8_S8_S8_S8_S8_EEEEZNS1_11reduce_implILb1ES3_PS9_SC_S9_12reduce_tupleIifEEE10hipError_tPvRmT1_T2_T3_mT4_P12ihipStream_tbEUlT_E1_NS1_11comp_targetILNS1_3genE9ELNS1_11target_archE1100ELNS1_3gpuE3ELNS1_3repE0EEENS1_30default_config_static_selectorELNS0_4arch9wavefront6targetE0EEEvSI_,"axG",@progbits,_ZN7rocprim17ROCPRIM_400000_NS6detail17trampoline_kernelINS0_14default_configENS1_22reduce_config_selectorIN6thrust23THRUST_200600_302600_NS5tupleIbffNS6_9null_typeES8_S8_S8_S8_S8_S8_EEEEZNS1_11reduce_implILb1ES3_PS9_SC_S9_12reduce_tupleIifEEE10hipError_tPvRmT1_T2_T3_mT4_P12ihipStream_tbEUlT_E1_NS1_11comp_targetILNS1_3genE9ELNS1_11target_archE1100ELNS1_3gpuE3ELNS1_3repE0EEENS1_30default_config_static_selectorELNS0_4arch9wavefront6targetE0EEEvSI_,comdat
.Lfunc_end17:
	.size	_ZN7rocprim17ROCPRIM_400000_NS6detail17trampoline_kernelINS0_14default_configENS1_22reduce_config_selectorIN6thrust23THRUST_200600_302600_NS5tupleIbffNS6_9null_typeES8_S8_S8_S8_S8_S8_EEEEZNS1_11reduce_implILb1ES3_PS9_SC_S9_12reduce_tupleIifEEE10hipError_tPvRmT1_T2_T3_mT4_P12ihipStream_tbEUlT_E1_NS1_11comp_targetILNS1_3genE9ELNS1_11target_archE1100ELNS1_3gpuE3ELNS1_3repE0EEENS1_30default_config_static_selectorELNS0_4arch9wavefront6targetE0EEEvSI_, .Lfunc_end17-_ZN7rocprim17ROCPRIM_400000_NS6detail17trampoline_kernelINS0_14default_configENS1_22reduce_config_selectorIN6thrust23THRUST_200600_302600_NS5tupleIbffNS6_9null_typeES8_S8_S8_S8_S8_S8_EEEEZNS1_11reduce_implILb1ES3_PS9_SC_S9_12reduce_tupleIifEEE10hipError_tPvRmT1_T2_T3_mT4_P12ihipStream_tbEUlT_E1_NS1_11comp_targetILNS1_3genE9ELNS1_11target_archE1100ELNS1_3gpuE3ELNS1_3repE0EEENS1_30default_config_static_selectorELNS0_4arch9wavefront6targetE0EEEvSI_
                                        ; -- End function
	.set _ZN7rocprim17ROCPRIM_400000_NS6detail17trampoline_kernelINS0_14default_configENS1_22reduce_config_selectorIN6thrust23THRUST_200600_302600_NS5tupleIbffNS6_9null_typeES8_S8_S8_S8_S8_S8_EEEEZNS1_11reduce_implILb1ES3_PS9_SC_S9_12reduce_tupleIifEEE10hipError_tPvRmT1_T2_T3_mT4_P12ihipStream_tbEUlT_E1_NS1_11comp_targetILNS1_3genE9ELNS1_11target_archE1100ELNS1_3gpuE3ELNS1_3repE0EEENS1_30default_config_static_selectorELNS0_4arch9wavefront6targetE0EEEvSI_.num_vgpr, 0
	.set _ZN7rocprim17ROCPRIM_400000_NS6detail17trampoline_kernelINS0_14default_configENS1_22reduce_config_selectorIN6thrust23THRUST_200600_302600_NS5tupleIbffNS6_9null_typeES8_S8_S8_S8_S8_S8_EEEEZNS1_11reduce_implILb1ES3_PS9_SC_S9_12reduce_tupleIifEEE10hipError_tPvRmT1_T2_T3_mT4_P12ihipStream_tbEUlT_E1_NS1_11comp_targetILNS1_3genE9ELNS1_11target_archE1100ELNS1_3gpuE3ELNS1_3repE0EEENS1_30default_config_static_selectorELNS0_4arch9wavefront6targetE0EEEvSI_.num_agpr, 0
	.set _ZN7rocprim17ROCPRIM_400000_NS6detail17trampoline_kernelINS0_14default_configENS1_22reduce_config_selectorIN6thrust23THRUST_200600_302600_NS5tupleIbffNS6_9null_typeES8_S8_S8_S8_S8_S8_EEEEZNS1_11reduce_implILb1ES3_PS9_SC_S9_12reduce_tupleIifEEE10hipError_tPvRmT1_T2_T3_mT4_P12ihipStream_tbEUlT_E1_NS1_11comp_targetILNS1_3genE9ELNS1_11target_archE1100ELNS1_3gpuE3ELNS1_3repE0EEENS1_30default_config_static_selectorELNS0_4arch9wavefront6targetE0EEEvSI_.numbered_sgpr, 0
	.set _ZN7rocprim17ROCPRIM_400000_NS6detail17trampoline_kernelINS0_14default_configENS1_22reduce_config_selectorIN6thrust23THRUST_200600_302600_NS5tupleIbffNS6_9null_typeES8_S8_S8_S8_S8_S8_EEEEZNS1_11reduce_implILb1ES3_PS9_SC_S9_12reduce_tupleIifEEE10hipError_tPvRmT1_T2_T3_mT4_P12ihipStream_tbEUlT_E1_NS1_11comp_targetILNS1_3genE9ELNS1_11target_archE1100ELNS1_3gpuE3ELNS1_3repE0EEENS1_30default_config_static_selectorELNS0_4arch9wavefront6targetE0EEEvSI_.num_named_barrier, 0
	.set _ZN7rocprim17ROCPRIM_400000_NS6detail17trampoline_kernelINS0_14default_configENS1_22reduce_config_selectorIN6thrust23THRUST_200600_302600_NS5tupleIbffNS6_9null_typeES8_S8_S8_S8_S8_S8_EEEEZNS1_11reduce_implILb1ES3_PS9_SC_S9_12reduce_tupleIifEEE10hipError_tPvRmT1_T2_T3_mT4_P12ihipStream_tbEUlT_E1_NS1_11comp_targetILNS1_3genE9ELNS1_11target_archE1100ELNS1_3gpuE3ELNS1_3repE0EEENS1_30default_config_static_selectorELNS0_4arch9wavefront6targetE0EEEvSI_.private_seg_size, 0
	.set _ZN7rocprim17ROCPRIM_400000_NS6detail17trampoline_kernelINS0_14default_configENS1_22reduce_config_selectorIN6thrust23THRUST_200600_302600_NS5tupleIbffNS6_9null_typeES8_S8_S8_S8_S8_S8_EEEEZNS1_11reduce_implILb1ES3_PS9_SC_S9_12reduce_tupleIifEEE10hipError_tPvRmT1_T2_T3_mT4_P12ihipStream_tbEUlT_E1_NS1_11comp_targetILNS1_3genE9ELNS1_11target_archE1100ELNS1_3gpuE3ELNS1_3repE0EEENS1_30default_config_static_selectorELNS0_4arch9wavefront6targetE0EEEvSI_.uses_vcc, 0
	.set _ZN7rocprim17ROCPRIM_400000_NS6detail17trampoline_kernelINS0_14default_configENS1_22reduce_config_selectorIN6thrust23THRUST_200600_302600_NS5tupleIbffNS6_9null_typeES8_S8_S8_S8_S8_S8_EEEEZNS1_11reduce_implILb1ES3_PS9_SC_S9_12reduce_tupleIifEEE10hipError_tPvRmT1_T2_T3_mT4_P12ihipStream_tbEUlT_E1_NS1_11comp_targetILNS1_3genE9ELNS1_11target_archE1100ELNS1_3gpuE3ELNS1_3repE0EEENS1_30default_config_static_selectorELNS0_4arch9wavefront6targetE0EEEvSI_.uses_flat_scratch, 0
	.set _ZN7rocprim17ROCPRIM_400000_NS6detail17trampoline_kernelINS0_14default_configENS1_22reduce_config_selectorIN6thrust23THRUST_200600_302600_NS5tupleIbffNS6_9null_typeES8_S8_S8_S8_S8_S8_EEEEZNS1_11reduce_implILb1ES3_PS9_SC_S9_12reduce_tupleIifEEE10hipError_tPvRmT1_T2_T3_mT4_P12ihipStream_tbEUlT_E1_NS1_11comp_targetILNS1_3genE9ELNS1_11target_archE1100ELNS1_3gpuE3ELNS1_3repE0EEENS1_30default_config_static_selectorELNS0_4arch9wavefront6targetE0EEEvSI_.has_dyn_sized_stack, 0
	.set _ZN7rocprim17ROCPRIM_400000_NS6detail17trampoline_kernelINS0_14default_configENS1_22reduce_config_selectorIN6thrust23THRUST_200600_302600_NS5tupleIbffNS6_9null_typeES8_S8_S8_S8_S8_S8_EEEEZNS1_11reduce_implILb1ES3_PS9_SC_S9_12reduce_tupleIifEEE10hipError_tPvRmT1_T2_T3_mT4_P12ihipStream_tbEUlT_E1_NS1_11comp_targetILNS1_3genE9ELNS1_11target_archE1100ELNS1_3gpuE3ELNS1_3repE0EEENS1_30default_config_static_selectorELNS0_4arch9wavefront6targetE0EEEvSI_.has_recursion, 0
	.set _ZN7rocprim17ROCPRIM_400000_NS6detail17trampoline_kernelINS0_14default_configENS1_22reduce_config_selectorIN6thrust23THRUST_200600_302600_NS5tupleIbffNS6_9null_typeES8_S8_S8_S8_S8_S8_EEEEZNS1_11reduce_implILb1ES3_PS9_SC_S9_12reduce_tupleIifEEE10hipError_tPvRmT1_T2_T3_mT4_P12ihipStream_tbEUlT_E1_NS1_11comp_targetILNS1_3genE9ELNS1_11target_archE1100ELNS1_3gpuE3ELNS1_3repE0EEENS1_30default_config_static_selectorELNS0_4arch9wavefront6targetE0EEEvSI_.has_indirect_call, 0
	.section	.AMDGPU.csdata,"",@progbits
; Kernel info:
; codeLenInByte = 0
; TotalNumSgprs: 0
; NumVgprs: 0
; ScratchSize: 0
; MemoryBound: 0
; FloatMode: 240
; IeeeMode: 1
; LDSByteSize: 0 bytes/workgroup (compile time only)
; SGPRBlocks: 0
; VGPRBlocks: 0
; NumSGPRsForWavesPerEU: 1
; NumVGPRsForWavesPerEU: 1
; NamedBarCnt: 0
; Occupancy: 16
; WaveLimiterHint : 0
; COMPUTE_PGM_RSRC2:SCRATCH_EN: 0
; COMPUTE_PGM_RSRC2:USER_SGPR: 2
; COMPUTE_PGM_RSRC2:TRAP_HANDLER: 0
; COMPUTE_PGM_RSRC2:TGID_X_EN: 1
; COMPUTE_PGM_RSRC2:TGID_Y_EN: 0
; COMPUTE_PGM_RSRC2:TGID_Z_EN: 0
; COMPUTE_PGM_RSRC2:TIDIG_COMP_CNT: 0
	.section	.text._ZN7rocprim17ROCPRIM_400000_NS6detail17trampoline_kernelINS0_14default_configENS1_22reduce_config_selectorIN6thrust23THRUST_200600_302600_NS5tupleIbffNS6_9null_typeES8_S8_S8_S8_S8_S8_EEEEZNS1_11reduce_implILb1ES3_PS9_SC_S9_12reduce_tupleIifEEE10hipError_tPvRmT1_T2_T3_mT4_P12ihipStream_tbEUlT_E1_NS1_11comp_targetILNS1_3genE8ELNS1_11target_archE1030ELNS1_3gpuE2ELNS1_3repE0EEENS1_30default_config_static_selectorELNS0_4arch9wavefront6targetE0EEEvSI_,"axG",@progbits,_ZN7rocprim17ROCPRIM_400000_NS6detail17trampoline_kernelINS0_14default_configENS1_22reduce_config_selectorIN6thrust23THRUST_200600_302600_NS5tupleIbffNS6_9null_typeES8_S8_S8_S8_S8_S8_EEEEZNS1_11reduce_implILb1ES3_PS9_SC_S9_12reduce_tupleIifEEE10hipError_tPvRmT1_T2_T3_mT4_P12ihipStream_tbEUlT_E1_NS1_11comp_targetILNS1_3genE8ELNS1_11target_archE1030ELNS1_3gpuE2ELNS1_3repE0EEENS1_30default_config_static_selectorELNS0_4arch9wavefront6targetE0EEEvSI_,comdat
	.protected	_ZN7rocprim17ROCPRIM_400000_NS6detail17trampoline_kernelINS0_14default_configENS1_22reduce_config_selectorIN6thrust23THRUST_200600_302600_NS5tupleIbffNS6_9null_typeES8_S8_S8_S8_S8_S8_EEEEZNS1_11reduce_implILb1ES3_PS9_SC_S9_12reduce_tupleIifEEE10hipError_tPvRmT1_T2_T3_mT4_P12ihipStream_tbEUlT_E1_NS1_11comp_targetILNS1_3genE8ELNS1_11target_archE1030ELNS1_3gpuE2ELNS1_3repE0EEENS1_30default_config_static_selectorELNS0_4arch9wavefront6targetE0EEEvSI_ ; -- Begin function _ZN7rocprim17ROCPRIM_400000_NS6detail17trampoline_kernelINS0_14default_configENS1_22reduce_config_selectorIN6thrust23THRUST_200600_302600_NS5tupleIbffNS6_9null_typeES8_S8_S8_S8_S8_S8_EEEEZNS1_11reduce_implILb1ES3_PS9_SC_S9_12reduce_tupleIifEEE10hipError_tPvRmT1_T2_T3_mT4_P12ihipStream_tbEUlT_E1_NS1_11comp_targetILNS1_3genE8ELNS1_11target_archE1030ELNS1_3gpuE2ELNS1_3repE0EEENS1_30default_config_static_selectorELNS0_4arch9wavefront6targetE0EEEvSI_
	.globl	_ZN7rocprim17ROCPRIM_400000_NS6detail17trampoline_kernelINS0_14default_configENS1_22reduce_config_selectorIN6thrust23THRUST_200600_302600_NS5tupleIbffNS6_9null_typeES8_S8_S8_S8_S8_S8_EEEEZNS1_11reduce_implILb1ES3_PS9_SC_S9_12reduce_tupleIifEEE10hipError_tPvRmT1_T2_T3_mT4_P12ihipStream_tbEUlT_E1_NS1_11comp_targetILNS1_3genE8ELNS1_11target_archE1030ELNS1_3gpuE2ELNS1_3repE0EEENS1_30default_config_static_selectorELNS0_4arch9wavefront6targetE0EEEvSI_
	.p2align	8
	.type	_ZN7rocprim17ROCPRIM_400000_NS6detail17trampoline_kernelINS0_14default_configENS1_22reduce_config_selectorIN6thrust23THRUST_200600_302600_NS5tupleIbffNS6_9null_typeES8_S8_S8_S8_S8_S8_EEEEZNS1_11reduce_implILb1ES3_PS9_SC_S9_12reduce_tupleIifEEE10hipError_tPvRmT1_T2_T3_mT4_P12ihipStream_tbEUlT_E1_NS1_11comp_targetILNS1_3genE8ELNS1_11target_archE1030ELNS1_3gpuE2ELNS1_3repE0EEENS1_30default_config_static_selectorELNS0_4arch9wavefront6targetE0EEEvSI_,@function
_ZN7rocprim17ROCPRIM_400000_NS6detail17trampoline_kernelINS0_14default_configENS1_22reduce_config_selectorIN6thrust23THRUST_200600_302600_NS5tupleIbffNS6_9null_typeES8_S8_S8_S8_S8_S8_EEEEZNS1_11reduce_implILb1ES3_PS9_SC_S9_12reduce_tupleIifEEE10hipError_tPvRmT1_T2_T3_mT4_P12ihipStream_tbEUlT_E1_NS1_11comp_targetILNS1_3genE8ELNS1_11target_archE1030ELNS1_3gpuE2ELNS1_3repE0EEENS1_30default_config_static_selectorELNS0_4arch9wavefront6targetE0EEEvSI_: ; @_ZN7rocprim17ROCPRIM_400000_NS6detail17trampoline_kernelINS0_14default_configENS1_22reduce_config_selectorIN6thrust23THRUST_200600_302600_NS5tupleIbffNS6_9null_typeES8_S8_S8_S8_S8_S8_EEEEZNS1_11reduce_implILb1ES3_PS9_SC_S9_12reduce_tupleIifEEE10hipError_tPvRmT1_T2_T3_mT4_P12ihipStream_tbEUlT_E1_NS1_11comp_targetILNS1_3genE8ELNS1_11target_archE1030ELNS1_3gpuE2ELNS1_3repE0EEENS1_30default_config_static_selectorELNS0_4arch9wavefront6targetE0EEEvSI_
; %bb.0:
	.section	.rodata,"a",@progbits
	.p2align	6, 0x0
	.amdhsa_kernel _ZN7rocprim17ROCPRIM_400000_NS6detail17trampoline_kernelINS0_14default_configENS1_22reduce_config_selectorIN6thrust23THRUST_200600_302600_NS5tupleIbffNS6_9null_typeES8_S8_S8_S8_S8_S8_EEEEZNS1_11reduce_implILb1ES3_PS9_SC_S9_12reduce_tupleIifEEE10hipError_tPvRmT1_T2_T3_mT4_P12ihipStream_tbEUlT_E1_NS1_11comp_targetILNS1_3genE8ELNS1_11target_archE1030ELNS1_3gpuE2ELNS1_3repE0EEENS1_30default_config_static_selectorELNS0_4arch9wavefront6targetE0EEEvSI_
		.amdhsa_group_segment_fixed_size 0
		.amdhsa_private_segment_fixed_size 0
		.amdhsa_kernarg_size 48
		.amdhsa_user_sgpr_count 2
		.amdhsa_user_sgpr_dispatch_ptr 0
		.amdhsa_user_sgpr_queue_ptr 0
		.amdhsa_user_sgpr_kernarg_segment_ptr 1
		.amdhsa_user_sgpr_dispatch_id 0
		.amdhsa_user_sgpr_kernarg_preload_length 0
		.amdhsa_user_sgpr_kernarg_preload_offset 0
		.amdhsa_user_sgpr_private_segment_size 0
		.amdhsa_wavefront_size32 1
		.amdhsa_uses_dynamic_stack 0
		.amdhsa_enable_private_segment 0
		.amdhsa_system_sgpr_workgroup_id_x 1
		.amdhsa_system_sgpr_workgroup_id_y 0
		.amdhsa_system_sgpr_workgroup_id_z 0
		.amdhsa_system_sgpr_workgroup_info 0
		.amdhsa_system_vgpr_workitem_id 0
		.amdhsa_next_free_vgpr 1
		.amdhsa_next_free_sgpr 1
		.amdhsa_named_barrier_count 0
		.amdhsa_reserve_vcc 0
		.amdhsa_float_round_mode_32 0
		.amdhsa_float_round_mode_16_64 0
		.amdhsa_float_denorm_mode_32 3
		.amdhsa_float_denorm_mode_16_64 3
		.amdhsa_fp16_overflow 0
		.amdhsa_memory_ordered 1
		.amdhsa_forward_progress 1
		.amdhsa_inst_pref_size 0
		.amdhsa_round_robin_scheduling 0
		.amdhsa_exception_fp_ieee_invalid_op 0
		.amdhsa_exception_fp_denorm_src 0
		.amdhsa_exception_fp_ieee_div_zero 0
		.amdhsa_exception_fp_ieee_overflow 0
		.amdhsa_exception_fp_ieee_underflow 0
		.amdhsa_exception_fp_ieee_inexact 0
		.amdhsa_exception_int_div_zero 0
	.end_amdhsa_kernel
	.section	.text._ZN7rocprim17ROCPRIM_400000_NS6detail17trampoline_kernelINS0_14default_configENS1_22reduce_config_selectorIN6thrust23THRUST_200600_302600_NS5tupleIbffNS6_9null_typeES8_S8_S8_S8_S8_S8_EEEEZNS1_11reduce_implILb1ES3_PS9_SC_S9_12reduce_tupleIifEEE10hipError_tPvRmT1_T2_T3_mT4_P12ihipStream_tbEUlT_E1_NS1_11comp_targetILNS1_3genE8ELNS1_11target_archE1030ELNS1_3gpuE2ELNS1_3repE0EEENS1_30default_config_static_selectorELNS0_4arch9wavefront6targetE0EEEvSI_,"axG",@progbits,_ZN7rocprim17ROCPRIM_400000_NS6detail17trampoline_kernelINS0_14default_configENS1_22reduce_config_selectorIN6thrust23THRUST_200600_302600_NS5tupleIbffNS6_9null_typeES8_S8_S8_S8_S8_S8_EEEEZNS1_11reduce_implILb1ES3_PS9_SC_S9_12reduce_tupleIifEEE10hipError_tPvRmT1_T2_T3_mT4_P12ihipStream_tbEUlT_E1_NS1_11comp_targetILNS1_3genE8ELNS1_11target_archE1030ELNS1_3gpuE2ELNS1_3repE0EEENS1_30default_config_static_selectorELNS0_4arch9wavefront6targetE0EEEvSI_,comdat
.Lfunc_end18:
	.size	_ZN7rocprim17ROCPRIM_400000_NS6detail17trampoline_kernelINS0_14default_configENS1_22reduce_config_selectorIN6thrust23THRUST_200600_302600_NS5tupleIbffNS6_9null_typeES8_S8_S8_S8_S8_S8_EEEEZNS1_11reduce_implILb1ES3_PS9_SC_S9_12reduce_tupleIifEEE10hipError_tPvRmT1_T2_T3_mT4_P12ihipStream_tbEUlT_E1_NS1_11comp_targetILNS1_3genE8ELNS1_11target_archE1030ELNS1_3gpuE2ELNS1_3repE0EEENS1_30default_config_static_selectorELNS0_4arch9wavefront6targetE0EEEvSI_, .Lfunc_end18-_ZN7rocprim17ROCPRIM_400000_NS6detail17trampoline_kernelINS0_14default_configENS1_22reduce_config_selectorIN6thrust23THRUST_200600_302600_NS5tupleIbffNS6_9null_typeES8_S8_S8_S8_S8_S8_EEEEZNS1_11reduce_implILb1ES3_PS9_SC_S9_12reduce_tupleIifEEE10hipError_tPvRmT1_T2_T3_mT4_P12ihipStream_tbEUlT_E1_NS1_11comp_targetILNS1_3genE8ELNS1_11target_archE1030ELNS1_3gpuE2ELNS1_3repE0EEENS1_30default_config_static_selectorELNS0_4arch9wavefront6targetE0EEEvSI_
                                        ; -- End function
	.set _ZN7rocprim17ROCPRIM_400000_NS6detail17trampoline_kernelINS0_14default_configENS1_22reduce_config_selectorIN6thrust23THRUST_200600_302600_NS5tupleIbffNS6_9null_typeES8_S8_S8_S8_S8_S8_EEEEZNS1_11reduce_implILb1ES3_PS9_SC_S9_12reduce_tupleIifEEE10hipError_tPvRmT1_T2_T3_mT4_P12ihipStream_tbEUlT_E1_NS1_11comp_targetILNS1_3genE8ELNS1_11target_archE1030ELNS1_3gpuE2ELNS1_3repE0EEENS1_30default_config_static_selectorELNS0_4arch9wavefront6targetE0EEEvSI_.num_vgpr, 0
	.set _ZN7rocprim17ROCPRIM_400000_NS6detail17trampoline_kernelINS0_14default_configENS1_22reduce_config_selectorIN6thrust23THRUST_200600_302600_NS5tupleIbffNS6_9null_typeES8_S8_S8_S8_S8_S8_EEEEZNS1_11reduce_implILb1ES3_PS9_SC_S9_12reduce_tupleIifEEE10hipError_tPvRmT1_T2_T3_mT4_P12ihipStream_tbEUlT_E1_NS1_11comp_targetILNS1_3genE8ELNS1_11target_archE1030ELNS1_3gpuE2ELNS1_3repE0EEENS1_30default_config_static_selectorELNS0_4arch9wavefront6targetE0EEEvSI_.num_agpr, 0
	.set _ZN7rocprim17ROCPRIM_400000_NS6detail17trampoline_kernelINS0_14default_configENS1_22reduce_config_selectorIN6thrust23THRUST_200600_302600_NS5tupleIbffNS6_9null_typeES8_S8_S8_S8_S8_S8_EEEEZNS1_11reduce_implILb1ES3_PS9_SC_S9_12reduce_tupleIifEEE10hipError_tPvRmT1_T2_T3_mT4_P12ihipStream_tbEUlT_E1_NS1_11comp_targetILNS1_3genE8ELNS1_11target_archE1030ELNS1_3gpuE2ELNS1_3repE0EEENS1_30default_config_static_selectorELNS0_4arch9wavefront6targetE0EEEvSI_.numbered_sgpr, 0
	.set _ZN7rocprim17ROCPRIM_400000_NS6detail17trampoline_kernelINS0_14default_configENS1_22reduce_config_selectorIN6thrust23THRUST_200600_302600_NS5tupleIbffNS6_9null_typeES8_S8_S8_S8_S8_S8_EEEEZNS1_11reduce_implILb1ES3_PS9_SC_S9_12reduce_tupleIifEEE10hipError_tPvRmT1_T2_T3_mT4_P12ihipStream_tbEUlT_E1_NS1_11comp_targetILNS1_3genE8ELNS1_11target_archE1030ELNS1_3gpuE2ELNS1_3repE0EEENS1_30default_config_static_selectorELNS0_4arch9wavefront6targetE0EEEvSI_.num_named_barrier, 0
	.set _ZN7rocprim17ROCPRIM_400000_NS6detail17trampoline_kernelINS0_14default_configENS1_22reduce_config_selectorIN6thrust23THRUST_200600_302600_NS5tupleIbffNS6_9null_typeES8_S8_S8_S8_S8_S8_EEEEZNS1_11reduce_implILb1ES3_PS9_SC_S9_12reduce_tupleIifEEE10hipError_tPvRmT1_T2_T3_mT4_P12ihipStream_tbEUlT_E1_NS1_11comp_targetILNS1_3genE8ELNS1_11target_archE1030ELNS1_3gpuE2ELNS1_3repE0EEENS1_30default_config_static_selectorELNS0_4arch9wavefront6targetE0EEEvSI_.private_seg_size, 0
	.set _ZN7rocprim17ROCPRIM_400000_NS6detail17trampoline_kernelINS0_14default_configENS1_22reduce_config_selectorIN6thrust23THRUST_200600_302600_NS5tupleIbffNS6_9null_typeES8_S8_S8_S8_S8_S8_EEEEZNS1_11reduce_implILb1ES3_PS9_SC_S9_12reduce_tupleIifEEE10hipError_tPvRmT1_T2_T3_mT4_P12ihipStream_tbEUlT_E1_NS1_11comp_targetILNS1_3genE8ELNS1_11target_archE1030ELNS1_3gpuE2ELNS1_3repE0EEENS1_30default_config_static_selectorELNS0_4arch9wavefront6targetE0EEEvSI_.uses_vcc, 0
	.set _ZN7rocprim17ROCPRIM_400000_NS6detail17trampoline_kernelINS0_14default_configENS1_22reduce_config_selectorIN6thrust23THRUST_200600_302600_NS5tupleIbffNS6_9null_typeES8_S8_S8_S8_S8_S8_EEEEZNS1_11reduce_implILb1ES3_PS9_SC_S9_12reduce_tupleIifEEE10hipError_tPvRmT1_T2_T3_mT4_P12ihipStream_tbEUlT_E1_NS1_11comp_targetILNS1_3genE8ELNS1_11target_archE1030ELNS1_3gpuE2ELNS1_3repE0EEENS1_30default_config_static_selectorELNS0_4arch9wavefront6targetE0EEEvSI_.uses_flat_scratch, 0
	.set _ZN7rocprim17ROCPRIM_400000_NS6detail17trampoline_kernelINS0_14default_configENS1_22reduce_config_selectorIN6thrust23THRUST_200600_302600_NS5tupleIbffNS6_9null_typeES8_S8_S8_S8_S8_S8_EEEEZNS1_11reduce_implILb1ES3_PS9_SC_S9_12reduce_tupleIifEEE10hipError_tPvRmT1_T2_T3_mT4_P12ihipStream_tbEUlT_E1_NS1_11comp_targetILNS1_3genE8ELNS1_11target_archE1030ELNS1_3gpuE2ELNS1_3repE0EEENS1_30default_config_static_selectorELNS0_4arch9wavefront6targetE0EEEvSI_.has_dyn_sized_stack, 0
	.set _ZN7rocprim17ROCPRIM_400000_NS6detail17trampoline_kernelINS0_14default_configENS1_22reduce_config_selectorIN6thrust23THRUST_200600_302600_NS5tupleIbffNS6_9null_typeES8_S8_S8_S8_S8_S8_EEEEZNS1_11reduce_implILb1ES3_PS9_SC_S9_12reduce_tupleIifEEE10hipError_tPvRmT1_T2_T3_mT4_P12ihipStream_tbEUlT_E1_NS1_11comp_targetILNS1_3genE8ELNS1_11target_archE1030ELNS1_3gpuE2ELNS1_3repE0EEENS1_30default_config_static_selectorELNS0_4arch9wavefront6targetE0EEEvSI_.has_recursion, 0
	.set _ZN7rocprim17ROCPRIM_400000_NS6detail17trampoline_kernelINS0_14default_configENS1_22reduce_config_selectorIN6thrust23THRUST_200600_302600_NS5tupleIbffNS6_9null_typeES8_S8_S8_S8_S8_S8_EEEEZNS1_11reduce_implILb1ES3_PS9_SC_S9_12reduce_tupleIifEEE10hipError_tPvRmT1_T2_T3_mT4_P12ihipStream_tbEUlT_E1_NS1_11comp_targetILNS1_3genE8ELNS1_11target_archE1030ELNS1_3gpuE2ELNS1_3repE0EEENS1_30default_config_static_selectorELNS0_4arch9wavefront6targetE0EEEvSI_.has_indirect_call, 0
	.section	.AMDGPU.csdata,"",@progbits
; Kernel info:
; codeLenInByte = 0
; TotalNumSgprs: 0
; NumVgprs: 0
; ScratchSize: 0
; MemoryBound: 0
; FloatMode: 240
; IeeeMode: 1
; LDSByteSize: 0 bytes/workgroup (compile time only)
; SGPRBlocks: 0
; VGPRBlocks: 0
; NumSGPRsForWavesPerEU: 1
; NumVGPRsForWavesPerEU: 1
; NamedBarCnt: 0
; Occupancy: 16
; WaveLimiterHint : 0
; COMPUTE_PGM_RSRC2:SCRATCH_EN: 0
; COMPUTE_PGM_RSRC2:USER_SGPR: 2
; COMPUTE_PGM_RSRC2:TRAP_HANDLER: 0
; COMPUTE_PGM_RSRC2:TGID_X_EN: 1
; COMPUTE_PGM_RSRC2:TGID_Y_EN: 0
; COMPUTE_PGM_RSRC2:TGID_Z_EN: 0
; COMPUTE_PGM_RSRC2:TIDIG_COMP_CNT: 0
	.section	.text._ZN7rocprim17ROCPRIM_400000_NS6detail17trampoline_kernelINS0_14default_configENS1_22reduce_config_selectorIN6thrust23THRUST_200600_302600_NS5tupleIbffNS6_9null_typeES8_S8_S8_S8_S8_S8_EEEEZNS1_11reduce_implILb1ES3_NS6_11hip_rocprim26transform_input_iterator_tIS9_NS6_12zip_iteratorINS7_INS6_17counting_iteratorIiNS6_11use_defaultESG_SG_EENS6_6detail15normal_iteratorINS6_10device_ptrIfEEEES8_S8_S8_S8_S8_S8_S8_S8_EEEE15transform_tupleIifEEEPS9_S9_12reduce_tupleIifEEE10hipError_tPvRmT1_T2_T3_mT4_P12ihipStream_tbEUlT_E0_NS1_11comp_targetILNS1_3genE0ELNS1_11target_archE4294967295ELNS1_3gpuE0ELNS1_3repE0EEENS1_30default_config_static_selectorELNS0_4arch9wavefront6targetE0EEEvSY_,"axG",@progbits,_ZN7rocprim17ROCPRIM_400000_NS6detail17trampoline_kernelINS0_14default_configENS1_22reduce_config_selectorIN6thrust23THRUST_200600_302600_NS5tupleIbffNS6_9null_typeES8_S8_S8_S8_S8_S8_EEEEZNS1_11reduce_implILb1ES3_NS6_11hip_rocprim26transform_input_iterator_tIS9_NS6_12zip_iteratorINS7_INS6_17counting_iteratorIiNS6_11use_defaultESG_SG_EENS6_6detail15normal_iteratorINS6_10device_ptrIfEEEES8_S8_S8_S8_S8_S8_S8_S8_EEEE15transform_tupleIifEEEPS9_S9_12reduce_tupleIifEEE10hipError_tPvRmT1_T2_T3_mT4_P12ihipStream_tbEUlT_E0_NS1_11comp_targetILNS1_3genE0ELNS1_11target_archE4294967295ELNS1_3gpuE0ELNS1_3repE0EEENS1_30default_config_static_selectorELNS0_4arch9wavefront6targetE0EEEvSY_,comdat
	.protected	_ZN7rocprim17ROCPRIM_400000_NS6detail17trampoline_kernelINS0_14default_configENS1_22reduce_config_selectorIN6thrust23THRUST_200600_302600_NS5tupleIbffNS6_9null_typeES8_S8_S8_S8_S8_S8_EEEEZNS1_11reduce_implILb1ES3_NS6_11hip_rocprim26transform_input_iterator_tIS9_NS6_12zip_iteratorINS7_INS6_17counting_iteratorIiNS6_11use_defaultESG_SG_EENS6_6detail15normal_iteratorINS6_10device_ptrIfEEEES8_S8_S8_S8_S8_S8_S8_S8_EEEE15transform_tupleIifEEEPS9_S9_12reduce_tupleIifEEE10hipError_tPvRmT1_T2_T3_mT4_P12ihipStream_tbEUlT_E0_NS1_11comp_targetILNS1_3genE0ELNS1_11target_archE4294967295ELNS1_3gpuE0ELNS1_3repE0EEENS1_30default_config_static_selectorELNS0_4arch9wavefront6targetE0EEEvSY_ ; -- Begin function _ZN7rocprim17ROCPRIM_400000_NS6detail17trampoline_kernelINS0_14default_configENS1_22reduce_config_selectorIN6thrust23THRUST_200600_302600_NS5tupleIbffNS6_9null_typeES8_S8_S8_S8_S8_S8_EEEEZNS1_11reduce_implILb1ES3_NS6_11hip_rocprim26transform_input_iterator_tIS9_NS6_12zip_iteratorINS7_INS6_17counting_iteratorIiNS6_11use_defaultESG_SG_EENS6_6detail15normal_iteratorINS6_10device_ptrIfEEEES8_S8_S8_S8_S8_S8_S8_S8_EEEE15transform_tupleIifEEEPS9_S9_12reduce_tupleIifEEE10hipError_tPvRmT1_T2_T3_mT4_P12ihipStream_tbEUlT_E0_NS1_11comp_targetILNS1_3genE0ELNS1_11target_archE4294967295ELNS1_3gpuE0ELNS1_3repE0EEENS1_30default_config_static_selectorELNS0_4arch9wavefront6targetE0EEEvSY_
	.globl	_ZN7rocprim17ROCPRIM_400000_NS6detail17trampoline_kernelINS0_14default_configENS1_22reduce_config_selectorIN6thrust23THRUST_200600_302600_NS5tupleIbffNS6_9null_typeES8_S8_S8_S8_S8_S8_EEEEZNS1_11reduce_implILb1ES3_NS6_11hip_rocprim26transform_input_iterator_tIS9_NS6_12zip_iteratorINS7_INS6_17counting_iteratorIiNS6_11use_defaultESG_SG_EENS6_6detail15normal_iteratorINS6_10device_ptrIfEEEES8_S8_S8_S8_S8_S8_S8_S8_EEEE15transform_tupleIifEEEPS9_S9_12reduce_tupleIifEEE10hipError_tPvRmT1_T2_T3_mT4_P12ihipStream_tbEUlT_E0_NS1_11comp_targetILNS1_3genE0ELNS1_11target_archE4294967295ELNS1_3gpuE0ELNS1_3repE0EEENS1_30default_config_static_selectorELNS0_4arch9wavefront6targetE0EEEvSY_
	.p2align	8
	.type	_ZN7rocprim17ROCPRIM_400000_NS6detail17trampoline_kernelINS0_14default_configENS1_22reduce_config_selectorIN6thrust23THRUST_200600_302600_NS5tupleIbffNS6_9null_typeES8_S8_S8_S8_S8_S8_EEEEZNS1_11reduce_implILb1ES3_NS6_11hip_rocprim26transform_input_iterator_tIS9_NS6_12zip_iteratorINS7_INS6_17counting_iteratorIiNS6_11use_defaultESG_SG_EENS6_6detail15normal_iteratorINS6_10device_ptrIfEEEES8_S8_S8_S8_S8_S8_S8_S8_EEEE15transform_tupleIifEEEPS9_S9_12reduce_tupleIifEEE10hipError_tPvRmT1_T2_T3_mT4_P12ihipStream_tbEUlT_E0_NS1_11comp_targetILNS1_3genE0ELNS1_11target_archE4294967295ELNS1_3gpuE0ELNS1_3repE0EEENS1_30default_config_static_selectorELNS0_4arch9wavefront6targetE0EEEvSY_,@function
_ZN7rocprim17ROCPRIM_400000_NS6detail17trampoline_kernelINS0_14default_configENS1_22reduce_config_selectorIN6thrust23THRUST_200600_302600_NS5tupleIbffNS6_9null_typeES8_S8_S8_S8_S8_S8_EEEEZNS1_11reduce_implILb1ES3_NS6_11hip_rocprim26transform_input_iterator_tIS9_NS6_12zip_iteratorINS7_INS6_17counting_iteratorIiNS6_11use_defaultESG_SG_EENS6_6detail15normal_iteratorINS6_10device_ptrIfEEEES8_S8_S8_S8_S8_S8_S8_S8_EEEE15transform_tupleIifEEEPS9_S9_12reduce_tupleIifEEE10hipError_tPvRmT1_T2_T3_mT4_P12ihipStream_tbEUlT_E0_NS1_11comp_targetILNS1_3genE0ELNS1_11target_archE4294967295ELNS1_3gpuE0ELNS1_3repE0EEENS1_30default_config_static_selectorELNS0_4arch9wavefront6targetE0EEEvSY_: ; @_ZN7rocprim17ROCPRIM_400000_NS6detail17trampoline_kernelINS0_14default_configENS1_22reduce_config_selectorIN6thrust23THRUST_200600_302600_NS5tupleIbffNS6_9null_typeES8_S8_S8_S8_S8_S8_EEEEZNS1_11reduce_implILb1ES3_NS6_11hip_rocprim26transform_input_iterator_tIS9_NS6_12zip_iteratorINS7_INS6_17counting_iteratorIiNS6_11use_defaultESG_SG_EENS6_6detail15normal_iteratorINS6_10device_ptrIfEEEES8_S8_S8_S8_S8_S8_S8_S8_EEEE15transform_tupleIifEEEPS9_S9_12reduce_tupleIifEEE10hipError_tPvRmT1_T2_T3_mT4_P12ihipStream_tbEUlT_E0_NS1_11comp_targetILNS1_3genE0ELNS1_11target_archE4294967295ELNS1_3gpuE0ELNS1_3repE0EEENS1_30default_config_static_selectorELNS0_4arch9wavefront6targetE0EEEvSY_
; %bb.0:
	s_clause 0x3
	s_load_b256 s[4:11], s[0:1], 0x18
	s_load_b128 s[12:15], s[0:1], 0x8
	s_load_b32 s22, s[0:1], 0x0
	s_load_b64 s[16:17], s[0:1], 0x38
	s_bfe_u32 s2, ttmp6, 0x4000c
	s_and_b32 s3, ttmp6, 15
	s_add_co_i32 s2, s2, 1
	s_getreg_b32 s18, hwreg(HW_REG_IB_STS2, 6, 4)
	s_mul_i32 s2, ttmp9, s2
	s_mov_b32 s21, 0
	s_add_co_i32 s19, s3, s2
	s_wait_kmcnt 0x0
	s_lshl_b64 s[2:3], s[4:5], 2
	s_cmp_eq_u32 s18, 0
	s_add_nc_u64 s[2:3], s[12:13], s[2:3]
	s_cselect_b32 s18, ttmp9, s19
	s_mov_b32 s19, s21
	s_lshl_b32 s20, s18, 8
	s_lshr_b64 s[12:13], s[6:7], 8
	s_add_co_i32 s22, s22, s20
	s_delay_alu instid0(SALU_CYCLE_1)
	s_add_co_i32 s22, s22, s4
	s_lshl_b64 s[4:5], s[20:21], 2
	s_cmp_lg_u64 s[12:13], s[18:19]
	s_add_nc_u64 s[12:13], s[2:3], s[4:5]
	s_cbranch_scc0 .LBB19_54
; %bb.1:
	s_clause 0x1
	global_load_b32 v2, v0, s[12:13] scale_offset
	global_load_b32 v4, v0, s[12:13] offset:512 scale_offset
	s_abs_i32 s2, s15
	s_delay_alu instid0(SALU_CYCLE_1) | instskip(SKIP_1) | instid1(SALU_CYCLE_2)
	s_cvt_f32_u32 s3, s2
	s_sub_co_i32 s4, 0, s2
	v_rcp_iflag_f32_e32 v1, s3
	v_nop
	s_delay_alu instid0(TRANS32_DEP_1) | instskip(SKIP_2) | instid1(VALU_DEP_1)
	v_readfirstlane_b32 s3, v1
	v_add_nc_u32_e32 v1, s22, v0
	s_mul_f32 s3, s3, 0x4f7ffffe
	v_add_nc_u32_e32 v5, 0x80, v1
	v_sub_nc_u32_e32 v6, 0xffffff80, v1
	s_delay_alu instid0(SALU_CYCLE_1) | instskip(NEXT) | instid1(VALU_DEP_1)
	s_cvt_u32_f32 s3, s3
	v_max_i32_e32 v6, v5, v6
	s_delay_alu instid0(SALU_CYCLE_2) | instskip(NEXT) | instid1(SALU_CYCLE_1)
	s_mul_i32 s4, s4, s3
	s_mul_hi_u32 s4, s3, s4
	s_delay_alu instid0(SALU_CYCLE_1)
	s_add_co_i32 s3, s3, s4
	s_delay_alu instid0(VALU_DEP_1) | instid1(SALU_CYCLE_1)
	v_mul_hi_u32 v8, v6, s3
	s_delay_alu instid0(VALU_DEP_1) | instskip(NEXT) | instid1(VALU_DEP_1)
	v_mul_lo_u32 v8, v8, s2
	v_dual_sub_nc_u32 v3, 0, v1 :: v_dual_sub_nc_u32 v6, v6, v8
	s_delay_alu instid0(VALU_DEP_1) | instskip(NEXT) | instid1(VALU_DEP_2)
	v_dual_ashrrev_i32 v1, 31, v1 :: v_dual_max_i32 v3, v1, v3
	v_subrev_nc_u32_e32 v8, s2, v6
	s_delay_alu instid0(VALU_DEP_2) | instskip(NEXT) | instid1(VALU_DEP_1)
	v_mul_hi_u32 v7, v3, s3
	v_mul_lo_u32 v7, v7, s2
	s_delay_alu instid0(VALU_DEP_1) | instskip(NEXT) | instid1(VALU_DEP_1)
	v_sub_nc_u32_e32 v3, v3, v7
	v_subrev_nc_u32_e32 v7, s2, v3
	v_cmp_le_u32_e32 vcc_lo, s2, v3
	s_delay_alu instid0(VALU_DEP_2) | instskip(SKIP_1) | instid1(VALU_DEP_2)
	v_cndmask_b32_e32 v3, v3, v7, vcc_lo
	v_cmp_le_u32_e32 vcc_lo, s2, v6
	v_subrev_nc_u32_e32 v7, s2, v3
	v_cndmask_b32_e32 v6, v6, v8, vcc_lo
	v_cmp_le_u32_e32 vcc_lo, s2, v3
	v_ashrrev_i32_e32 v5, 31, v5
	s_delay_alu instid0(VALU_DEP_3) | instskip(SKIP_2) | instid1(VALU_DEP_2)
	v_subrev_nc_u32_e32 v8, s2, v6
	v_cndmask_b32_e32 v3, v3, v7, vcc_lo
	v_cmp_le_u32_e32 vcc_lo, s2, v6
	v_dual_cndmask_b32 v6, v6, v8, vcc_lo :: v_dual_bitop2_b32 v3, v3, v1 bitop3:0x14
	s_delay_alu instid0(VALU_DEP_1) | instskip(NEXT) | instid1(VALU_DEP_2)
	v_xor_b32_e32 v6, v6, v5
	v_sub_nc_u32_e32 v1, v3, v1
	s_delay_alu instid0(VALU_DEP_2) | instskip(NEXT) | instid1(VALU_DEP_2)
	v_sub_nc_u32_e32 v3, v6, v5
	v_cmp_le_i32_e64 s2, s14, v1
                                        ; implicit-def: $vgpr1
	s_delay_alu instid0(VALU_DEP_2) | instskip(SKIP_4) | instid1(SALU_CYCLE_1)
	v_cmp_le_i32_e64 s3, s14, v3
	v_cmp_gt_i32_e32 vcc_lo, s14, v3
	s_or_b32 s3, s2, s3
	s_wait_xcnt 0x0
	s_and_saveexec_b32 s4, s3
	s_xor_b32 s3, exec_lo, s4
	s_cbranch_execz .LBB19_5
; %bb.2:
	s_wait_loadcnt 0x1
	v_dual_mov_b32 v3, v2 :: v_dual_mov_b32 v1, 1
	s_and_saveexec_b32 s4, s2
	s_cbranch_execz .LBB19_4
; %bb.3:
	s_wait_loadcnt 0x0
	v_mov_b32_e32 v5, v4
	v_cndmask_b32_e64 v1, 0, 1, vcc_lo
	s_delay_alu instid0(VALU_DEP_2)
	v_mov_b64_e32 v[2:3], v[4:5]
.LBB19_4:
	s_or_b32 exec_lo, exec_lo, s4
                                        ; implicit-def: $vgpr4
.LBB19_5:
	s_and_not1_saveexec_b32 s2, s3
	s_cbranch_execz .LBB19_7
; %bb.6:
	s_wait_loadcnt 0x0
	s_delay_alu instid0(VALU_DEP_1)
	v_cmp_lt_f32_e32 vcc_lo, v2, v4
	v_dual_mov_b32 v1, 1 :: v_dual_cndmask_b32 v3, v2, v4, vcc_lo
	v_cmp_lt_f32_e32 vcc_lo, v4, v2
	v_cndmask_b32_e32 v2, v2, v4, vcc_lo
.LBB19_7:
	s_or_b32 exec_lo, exec_lo, s2
	s_delay_alu instid0(VALU_DEP_3) | instskip(SKIP_3) | instid1(VALU_DEP_3)
	v_and_b32_e32 v6, 0xff, v1
	v_and_b32_e32 v1, 1, v1
	v_mov_b32_dpp v5, v3 quad_perm:[1,0,3,2] row_mask:0xf bank_mask:0xf
	s_wait_loadcnt 0x0
	v_mov_b32_dpp v4, v6 quad_perm:[1,0,3,2] row_mask:0xf bank_mask:0xf
	s_delay_alu instid0(VALU_DEP_3) | instskip(NEXT) | instid1(VALU_DEP_2)
	v_cmp_eq_u32_e64 s2, 1, v1
                                        ; implicit-def: $vgpr1
	v_and_b32_e32 v4, 1, v4
	s_delay_alu instid0(VALU_DEP_1) | instskip(SKIP_2) | instid1(SALU_CYCLE_1)
	v_cmp_eq_u32_e32 vcc_lo, 1, v4
	v_mov_b32_dpp v4, v2 quad_perm:[1,0,3,2] row_mask:0xf bank_mask:0xf
	s_and_b32 s2, vcc_lo, s2
	s_xor_b32 s2, s2, -1
	s_delay_alu instid0(SALU_CYCLE_1) | instskip(NEXT) | instid1(SALU_CYCLE_1)
	s_and_saveexec_b32 s3, s2
	s_xor_b32 s2, exec_lo, s3
	s_cbranch_execz .LBB19_11
; %bb.8:
	v_mov_b32_e32 v1, 1
	s_xor_b32 s4, vcc_lo, -1
	s_delay_alu instid0(SALU_CYCLE_1)
	s_and_saveexec_b32 s3, s4
; %bb.9:
	v_mov_b64_e32 v[4:5], v[2:3]
	v_mov_b32_e32 v1, v6
; %bb.10:
	s_or_b32 exec_lo, exec_lo, s3
                                        ; implicit-def: $vgpr2_vgpr3
.LBB19_11:
	s_and_not1_saveexec_b32 s2, s2
; %bb.12:
	s_delay_alu instid0(VALU_DEP_2) | instskip(SKIP_1) | instid1(VALU_DEP_4)
	v_cmp_lt_f32_e32 vcc_lo, v5, v3
	v_dual_mov_b32 v1, 1 :: v_dual_cndmask_b32 v5, v5, v3, vcc_lo
	v_cmp_lt_f32_e32 vcc_lo, v2, v4
	v_cndmask_b32_e32 v4, v4, v2, vcc_lo
; %bb.13:
	s_or_b32 exec_lo, exec_lo, s2
	s_delay_alu instid0(VALU_DEP_3) | instskip(NEXT) | instid1(VALU_DEP_1)
	v_mov_b32_dpp v2, v1 quad_perm:[2,3,0,1] row_mask:0xf bank_mask:0xf
	v_and_b32_e32 v3, v2, v1
	v_and_b32_e32 v6, 1, v2
	v_mov_b32_dpp v2, v4 quad_perm:[2,3,0,1] row_mask:0xf bank_mask:0xf
	s_delay_alu instid0(VALU_DEP_3) | instskip(SKIP_1) | instid1(VALU_DEP_4)
	v_and_b32_e32 v7, 1, v3
	v_mov_b32_dpp v3, v5 quad_perm:[2,3,0,1] row_mask:0xf bank_mask:0xf
	v_cmp_ne_u32_e32 vcc_lo, 1, v6
                                        ; implicit-def: $vgpr6
	s_delay_alu instid0(VALU_DEP_3) | instskip(SKIP_1) | instid1(SALU_CYCLE_1)
	v_cmp_ne_u32_e64 s2, 1, v7
	s_and_saveexec_b32 s3, s2
	s_xor_b32 s2, exec_lo, s3
	s_cbranch_execz .LBB19_17
; %bb.14:
	v_mov_b32_e32 v6, 1
	s_and_saveexec_b32 s3, vcc_lo
; %bb.15:
	v_mov_b64_e32 v[2:3], v[4:5]
	v_mov_b32_e32 v6, v1
; %bb.16:
	s_or_b32 exec_lo, exec_lo, s3
                                        ; implicit-def: $vgpr4_vgpr5
.LBB19_17:
	s_and_not1_saveexec_b32 s2, s2
; %bb.18:
	s_delay_alu instid0(VALU_DEP_2) | instskip(SKIP_1) | instid1(VALU_DEP_4)
	v_cmp_lt_f32_e32 vcc_lo, v3, v5
	v_dual_mov_b32 v6, 1 :: v_dual_cndmask_b32 v3, v3, v5
	v_cmp_lt_f32_e32 vcc_lo, v4, v2
	v_cndmask_b32_e32 v2, v2, v4, vcc_lo
; %bb.19:
	s_or_b32 exec_lo, exec_lo, s2
	s_delay_alu instid0(VALU_DEP_3) | instskip(SKIP_1) | instid1(VALU_DEP_2)
	v_mov_b32_dpp v1, v6 row_ror:4 row_mask:0xf bank_mask:0xf
	v_mov_b32_dpp v5, v3 row_ror:4 row_mask:0xf bank_mask:0xf
	v_and_b32_e32 v4, v1, v6
	v_and_b32_e32 v1, 1, v1
	s_delay_alu instid0(VALU_DEP_2) | instskip(SKIP_1) | instid1(VALU_DEP_3)
	v_and_b32_e32 v7, 1, v4
	v_mov_b32_dpp v4, v2 row_ror:4 row_mask:0xf bank_mask:0xf
	v_cmp_ne_u32_e32 vcc_lo, 1, v1
                                        ; implicit-def: $vgpr1
	s_delay_alu instid0(VALU_DEP_3) | instskip(SKIP_1) | instid1(SALU_CYCLE_1)
	v_cmp_ne_u32_e64 s2, 1, v7
	s_and_saveexec_b32 s3, s2
	s_xor_b32 s2, exec_lo, s3
	s_cbranch_execz .LBB19_23
; %bb.20:
	v_mov_b32_e32 v1, 1
	s_and_saveexec_b32 s3, vcc_lo
; %bb.21:
	v_mov_b64_e32 v[4:5], v[2:3]
	v_mov_b32_e32 v1, v6
; %bb.22:
	s_or_b32 exec_lo, exec_lo, s3
                                        ; implicit-def: $vgpr2_vgpr3
.LBB19_23:
	s_and_not1_saveexec_b32 s2, s2
; %bb.24:
	s_delay_alu instid0(VALU_DEP_2) | instskip(SKIP_1) | instid1(VALU_DEP_4)
	v_cmp_lt_f32_e32 vcc_lo, v5, v3
	v_dual_mov_b32 v1, 1 :: v_dual_cndmask_b32 v5, v5, v3, vcc_lo
	v_cmp_lt_f32_e32 vcc_lo, v2, v4
	v_cndmask_b32_e32 v4, v4, v2, vcc_lo
; %bb.25:
	s_or_b32 exec_lo, exec_lo, s2
	s_delay_alu instid0(VALU_DEP_3) | instskip(NEXT) | instid1(VALU_DEP_1)
	v_mov_b32_dpp v2, v1 row_ror:8 row_mask:0xf bank_mask:0xf
	v_and_b32_e32 v3, v2, v1
	v_and_b32_e32 v6, 1, v2
	v_mov_b32_dpp v2, v4 row_ror:8 row_mask:0xf bank_mask:0xf
	s_delay_alu instid0(VALU_DEP_3) | instskip(SKIP_1) | instid1(VALU_DEP_4)
	v_and_b32_e32 v7, 1, v3
	v_mov_b32_dpp v3, v5 row_ror:8 row_mask:0xf bank_mask:0xf
	v_cmp_ne_u32_e32 vcc_lo, 1, v6
                                        ; implicit-def: $vgpr6
	s_delay_alu instid0(VALU_DEP_3) | instskip(SKIP_1) | instid1(SALU_CYCLE_1)
	v_cmp_ne_u32_e64 s2, 1, v7
	s_and_saveexec_b32 s3, s2
	s_xor_b32 s2, exec_lo, s3
	s_cbranch_execz .LBB19_29
; %bb.26:
	v_mov_b32_e32 v6, 1
	s_and_saveexec_b32 s3, vcc_lo
; %bb.27:
	v_mov_b64_e32 v[2:3], v[4:5]
	v_mov_b32_e32 v6, v1
; %bb.28:
	s_or_b32 exec_lo, exec_lo, s3
                                        ; implicit-def: $vgpr4_vgpr5
.LBB19_29:
	s_and_not1_saveexec_b32 s2, s2
; %bb.30:
	s_delay_alu instid0(VALU_DEP_2) | instskip(SKIP_1) | instid1(VALU_DEP_4)
	v_cmp_lt_f32_e32 vcc_lo, v3, v5
	v_dual_mov_b32 v6, 1 :: v_dual_cndmask_b32 v3, v3, v5
	v_cmp_lt_f32_e32 vcc_lo, v4, v2
	v_cndmask_b32_e32 v2, v2, v4, vcc_lo
; %bb.31:
	s_or_b32 exec_lo, exec_lo, s2
	ds_swizzle_b32 v1, v6 offset:swizzle(BROADCAST,32,15)
	ds_swizzle_b32 v4, v2 offset:swizzle(BROADCAST,32,15)
	;; [unrolled: 1-line block ×3, first 2 shown]
	s_wait_dscnt 0x2
	v_and_b32_e32 v7, v1, v6
	v_and_b32_e32 v1, 1, v1
	s_delay_alu instid0(VALU_DEP_2) | instskip(NEXT) | instid1(VALU_DEP_2)
	v_and_b32_e32 v7, 1, v7
	v_cmp_ne_u32_e32 vcc_lo, 1, v1
                                        ; implicit-def: $vgpr1
	s_delay_alu instid0(VALU_DEP_2) | instskip(SKIP_1) | instid1(SALU_CYCLE_1)
	v_cmp_ne_u32_e64 s2, 1, v7
	s_and_saveexec_b32 s3, s2
	s_xor_b32 s2, exec_lo, s3
	s_cbranch_execz .LBB19_35
; %bb.32:
	v_mov_b32_e32 v1, 1
	s_and_saveexec_b32 s3, vcc_lo
	s_cbranch_execz .LBB19_34
; %bb.33:
	s_wait_dscnt 0x0
	v_mov_b64_e32 v[4:5], v[2:3]
	v_mov_b32_e32 v1, v6
.LBB19_34:
	s_or_b32 exec_lo, exec_lo, s3
                                        ; implicit-def: $vgpr2_vgpr3
.LBB19_35:
	s_and_not1_saveexec_b32 s2, s2
	s_cbranch_execz .LBB19_37
; %bb.36:
	s_wait_dscnt 0x0
	s_delay_alu instid0(VALU_DEP_2)
	v_cmp_lt_f32_e32 vcc_lo, v5, v3
	v_dual_mov_b32 v1, 1 :: v_dual_cndmask_b32 v5, v5, v3, vcc_lo
	v_cmp_lt_f32_e32 vcc_lo, v2, v4
	v_cndmask_b32_e32 v4, v4, v2, vcc_lo
.LBB19_37:
	s_or_b32 exec_lo, exec_lo, s2
	v_mov_b32_e32 v3, 0
	s_mov_b32 s2, exec_lo
	ds_bpermute_b32 v8, v3, v1 offset:124
	s_wait_dscnt 0x2
	ds_bpermute_b32 v2, v3, v4 offset:124
	s_wait_dscnt 0x2
	ds_bpermute_b32 v3, v3, v5 offset:124
	v_mbcnt_lo_u32_b32 v1, -1, 0
	s_delay_alu instid0(VALU_DEP_1)
	v_cmpx_eq_u32_e32 0, v1
	s_cbranch_execz .LBB19_39
; %bb.38:
	v_lshrrev_b32_e32 v4, 5, v0
	s_delay_alu instid0(VALU_DEP_1)
	v_mul_u32_u24_e32 v4, 12, v4
	s_wait_dscnt 0x2
	ds_store_b8 v4, v8 offset:48
	s_wait_dscnt 0x1
	ds_store_2addr_b32 v4, v2, v3 offset0:13 offset1:14
.LBB19_39:
	s_or_b32 exec_lo, exec_lo, s2
	s_delay_alu instid0(SALU_CYCLE_1)
	s_mov_b32 s2, exec_lo
	s_wait_dscnt 0x0
	s_barrier_signal -1
	s_barrier_wait -1
	v_cmpx_gt_u32_e32 32, v0
	s_cbranch_execz .LBB19_53
; %bb.40:
	v_and_b32_e32 v2, 3, v1
	s_mov_b32 s3, exec_lo
	s_delay_alu instid0(VALU_DEP_1) | instskip(SKIP_1) | instid1(VALU_DEP_1)
	v_cmp_ne_u32_e32 vcc_lo, 3, v2
	v_add_co_ci_u32_e64 v4, null, 0, v1, vcc_lo
	v_lshlrev_b32_e32 v7, 2, v4
	v_mul_u32_u24_e32 v3, 12, v2
	ds_load_u8 v8, v3 offset:48
	ds_load_2addr_b32 v[2:3], v3 offset0:13 offset1:14
	s_wait_dscnt 0x1
	v_and_b32_e32 v5, 0xff, v8
	s_wait_dscnt 0x0
	ds_bpermute_b32 v4, v7, v2
	ds_bpermute_b32 v6, v7, v5
	;; [unrolled: 1-line block ×3, first 2 shown]
	s_wait_dscnt 0x1
	v_and_b32_e32 v7, v8, v6
	s_delay_alu instid0(VALU_DEP_1) | instskip(NEXT) | instid1(VALU_DEP_1)
	v_and_b32_e32 v7, 1, v7
	v_cmpx_eq_u32_e32 1, v7
	s_xor_b32 s3, exec_lo, s3
	s_cbranch_execz .LBB19_42
; %bb.41:
	s_wait_dscnt 0x0
	v_cmp_gt_f32_e32 vcc_lo, v5, v3
                                        ; implicit-def: $vgpr6
                                        ; implicit-def: $vgpr8
	v_cndmask_b32_e32 v5, v3, v5, vcc_lo
	v_cmp_gt_f32_e32 vcc_lo, v2, v4
	v_cndmask_b32_e32 v4, v2, v4, vcc_lo
                                        ; implicit-def: $vgpr2_vgpr3
.LBB19_42:
	s_or_saveexec_b32 s3, s3
	v_dual_lshlrev_b32 v1, 2, v1 :: v_dual_mov_b32 v7, 1
	s_xor_b32 exec_lo, exec_lo, s3
	s_cbranch_execz .LBB19_46
; %bb.43:
	v_and_b32_e32 v7, 1, v8
	s_mov_b32 s4, exec_lo
	s_delay_alu instid0(VALU_DEP_1)
	v_cmpx_eq_u32_e32 1, v7
	s_cbranch_execz .LBB19_45
; %bb.44:
	s_wait_dscnt 0x0
	v_mov_b64_e32 v[4:5], v[2:3]
	v_mov_b32_e32 v6, 1
.LBB19_45:
	s_or_b32 exec_lo, exec_lo, s4
	s_delay_alu instid0(VALU_DEP_1)
	v_mov_b32_e32 v7, v6
.LBB19_46:
	s_or_b32 exec_lo, exec_lo, s3
	s_delay_alu instid0(VALU_DEP_1)
	v_and_b32_e32 v2, 0xff, v7
	v_or_b32_e32 v3, 8, v1
	s_mov_b32 s3, exec_lo
	ds_bpermute_b32 v1, v3, v2
	ds_bpermute_b32 v2, v3, v4
	s_wait_dscnt 0x2
	ds_bpermute_b32 v3, v3, v5
	s_wait_dscnt 0x2
	v_and_b32_e32 v6, v7, v1
	s_delay_alu instid0(VALU_DEP_1) | instskip(NEXT) | instid1(VALU_DEP_1)
	v_and_b32_e32 v6, 1, v6
	v_cmpx_eq_u32_e32 1, v6
	s_xor_b32 s3, exec_lo, s3
	s_cbranch_execz .LBB19_48
; %bb.47:
	s_wait_dscnt 0x0
	v_cmp_gt_f32_e32 vcc_lo, v3, v5
                                        ; implicit-def: $vgpr1
                                        ; implicit-def: $vgpr7
	v_cndmask_b32_e32 v3, v5, v3, vcc_lo
	v_cmp_gt_f32_e32 vcc_lo, v4, v2
	v_cndmask_b32_e32 v2, v4, v2, vcc_lo
                                        ; implicit-def: $vgpr4_vgpr5
.LBB19_48:
	s_or_saveexec_b32 s3, s3
	v_mov_b32_e32 v8, 1
	s_xor_b32 exec_lo, exec_lo, s3
	s_cbranch_execz .LBB19_52
; %bb.49:
	v_and_b32_e32 v6, 1, v7
	s_mov_b32 s4, exec_lo
	s_delay_alu instid0(VALU_DEP_1)
	v_cmpx_eq_u32_e32 1, v6
	s_cbranch_execz .LBB19_51
; %bb.50:
	s_wait_dscnt 0x0
	v_mov_b64_e32 v[2:3], v[4:5]
	v_mov_b32_e32 v1, 1
.LBB19_51:
	s_or_b32 exec_lo, exec_lo, s4
	s_delay_alu instid0(VALU_DEP_1)
	v_mov_b32_e32 v8, v1
.LBB19_52:
	s_or_b32 exec_lo, exec_lo, s3
.LBB19_53:
	s_delay_alu instid0(SALU_CYCLE_1)
	s_or_b32 exec_lo, exec_lo, s2
	s_load_b64 s[4:5], s[0:1], 0x44
	s_branch .LBB19_128
.LBB19_54:
                                        ; implicit-def: $vgpr2_vgpr3
                                        ; implicit-def: $vgpr8
	s_load_b64 s[4:5], s[0:1], 0x44
	s_cbranch_execz .LBB19_128
; %bb.55:
	v_dual_mov_b32 v10, 0 :: v_dual_mov_b32 v6, 0
	v_mov_b32_e32 v4, 0
	s_sub_co_i32 s3, s6, s20
	s_mov_b32 s2, exec_lo
	v_cmpx_gt_u32_e64 s3, v0
	s_cbranch_execz .LBB19_57
; %bb.56:
	global_load_b32 v4, v0, s[12:13] scale_offset
	s_abs_i32 s20, s15
	s_delay_alu instid0(SALU_CYCLE_1) | instskip(SKIP_1) | instid1(SALU_CYCLE_2)
	s_cvt_f32_u32 s21, s20
	s_sub_co_i32 s23, 0, s20
	v_rcp_iflag_f32_e32 v1, s21
	v_nop
	s_delay_alu instid0(TRANS32_DEP_1) | instskip(SKIP_3) | instid1(VALU_DEP_1)
	v_readfirstlane_b32 s21, v1
	v_add_nc_u32_e32 v1, s22, v0
	s_mul_f32 s21, s21, 0x4f7ffffe
	s_wait_dscnt 0x1
	v_sub_nc_u32_e32 v2, 0, v1
	s_delay_alu instid0(SALU_CYCLE_1) | instskip(NEXT) | instid1(VALU_DEP_1)
	s_cvt_u32_f32 s21, s21
	v_max_i32_e32 v2, v1, v2
	s_delay_alu instid0(SALU_CYCLE_2) | instskip(NEXT) | instid1(SALU_CYCLE_1)
	s_mul_i32 s23, s23, s21
	s_mul_hi_u32 s23, s21, s23
	s_delay_alu instid0(SALU_CYCLE_1) | instskip(SKIP_2) | instid1(VALU_DEP_1)
	s_add_co_i32 s21, s21, s23
	s_wait_dscnt 0x0
	v_mul_hi_u32 v3, v2, s21
	v_mul_lo_u32 v3, v3, s20
	s_delay_alu instid0(VALU_DEP_1) | instskip(NEXT) | instid1(VALU_DEP_1)
	v_dual_sub_nc_u32 v2, v2, v3 :: v_dual_ashrrev_i32 v1, 31, v1
	v_subrev_nc_u32_e32 v3, s20, v2
	v_cmp_le_u32_e32 vcc_lo, s20, v2
	s_delay_alu instid0(VALU_DEP_2) | instskip(NEXT) | instid1(VALU_DEP_1)
	v_cndmask_b32_e32 v2, v2, v3, vcc_lo
	v_subrev_nc_u32_e32 v3, s20, v2
	v_cmp_le_u32_e32 vcc_lo, s20, v2
	s_delay_alu instid0(VALU_DEP_2) | instskip(NEXT) | instid1(VALU_DEP_1)
	v_cndmask_b32_e32 v2, v2, v3, vcc_lo
	v_xor_b32_e32 v2, v2, v1
	s_delay_alu instid0(VALU_DEP_1) | instskip(NEXT) | instid1(VALU_DEP_1)
	v_sub_nc_u32_e32 v1, v2, v1
	v_cmp_gt_i32_e32 vcc_lo, s14, v1
	v_cndmask_b32_e64 v10, 0, 1, vcc_lo
.LBB19_57:
	s_wait_xcnt 0x0
	s_or_b32 exec_lo, exec_lo, s2
	s_wait_dscnt 0x1
	v_or_b32_e32 v2, 0x80, v0
	v_mov_b32_e32 v1, 0
	s_delay_alu instid0(VALU_DEP_2)
	v_cmp_gt_u32_e32 vcc_lo, s3, v2
	s_and_saveexec_b32 s20, vcc_lo
	s_cbranch_execz .LBB19_59
; %bb.58:
	global_load_b32 v6, v0, s[12:13] offset:512 scale_offset
	s_wait_xcnt 0x0
	s_abs_i32 s12, s15
	s_delay_alu instid0(SALU_CYCLE_1) | instskip(SKIP_1) | instid1(SALU_CYCLE_2)
	s_cvt_f32_u32 s2, s12
	s_sub_co_i32 s13, 0, s12
	v_rcp_iflag_f32_e32 v1, s2
	v_nop
	s_delay_alu instid0(TRANS32_DEP_1) | instskip(SKIP_2) | instid1(VALU_DEP_1)
	v_readfirstlane_b32 s2, v1
	v_add_nc_u32_e32 v1, s22, v2
	s_mul_f32 s2, s2, 0x4f7ffffe
	v_sub_nc_u32_e32 v2, 0, v1
	s_delay_alu instid0(SALU_CYCLE_2) | instskip(NEXT) | instid1(VALU_DEP_1)
	s_cvt_u32_f32 s2, s2
	v_max_i32_e32 v2, v1, v2
	s_delay_alu instid0(SALU_CYCLE_2) | instskip(NEXT) | instid1(SALU_CYCLE_1)
	s_mul_i32 s13, s13, s2
	s_mul_hi_u32 s13, s2, s13
	s_delay_alu instid0(SALU_CYCLE_1) | instskip(SKIP_2) | instid1(VALU_DEP_1)
	s_add_co_i32 s2, s2, s13
	s_wait_dscnt 0x0
	v_mul_hi_u32 v3, v2, s2
	v_mul_lo_u32 v3, v3, s12
	s_delay_alu instid0(VALU_DEP_1) | instskip(NEXT) | instid1(VALU_DEP_1)
	v_dual_sub_nc_u32 v2, v2, v3 :: v_dual_ashrrev_i32 v1, 31, v1
	v_subrev_nc_u32_e32 v3, s12, v2
	v_cmp_le_u32_e64 s2, s12, v2
	s_delay_alu instid0(VALU_DEP_1) | instskip(NEXT) | instid1(VALU_DEP_1)
	v_cndmask_b32_e64 v2, v2, v3, s2
	v_subrev_nc_u32_e32 v3, s12, v2
	v_cmp_le_u32_e64 s2, s12, v2
	s_delay_alu instid0(VALU_DEP_1) | instskip(NEXT) | instid1(VALU_DEP_1)
	v_cndmask_b32_e64 v2, v2, v3, s2
	v_xor_b32_e32 v2, v2, v1
	s_delay_alu instid0(VALU_DEP_1) | instskip(NEXT) | instid1(VALU_DEP_1)
	v_sub_nc_u32_e32 v1, v2, v1
	v_cmp_gt_i32_e64 s2, s14, v1
	s_delay_alu instid0(VALU_DEP_1)
	v_cndmask_b32_e64 v1, 0, 1, s2
.LBB19_59:
	s_or_b32 exec_lo, exec_lo, s20
	s_wait_loadcnt 0x0
	v_mov_b32_e32 v2, v4
	s_and_saveexec_b32 s12, vcc_lo
	s_cbranch_execz .LBB19_67
; %bb.60:
	v_and_b32_e32 v2, v10, v1
	s_wait_dscnt 0x0
	v_and_b32_e32 v3, 1, v10
                                        ; implicit-def: $vgpr10
                                        ; implicit-def: $vgpr8_vgpr9
	s_delay_alu instid0(VALU_DEP_2) | instskip(NEXT) | instid1(VALU_DEP_2)
	v_and_b32_e32 v2, 1, v2
	v_cmp_eq_u32_e32 vcc_lo, 1, v3
	s_delay_alu instid0(VALU_DEP_2) | instskip(SKIP_1) | instid1(SALU_CYCLE_1)
	v_cmp_eq_u32_e64 s2, 1, v2
	s_xor_b32 s2, s2, -1
	s_and_saveexec_b32 s13, s2
	s_delay_alu instid0(SALU_CYCLE_1)
	s_xor_b32 s2, exec_lo, s13
	s_cbranch_execz .LBB19_64
; %bb.61:
	v_mov_b64_e32 v[8:9], v[4:5]
	v_mov_b32_e32 v10, 1
	s_xor_b32 s14, vcc_lo, -1
	s_delay_alu instid0(SALU_CYCLE_1)
	s_and_saveexec_b32 s13, s14
; %bb.62:
	v_mov_b64_e32 v[8:9], v[6:7]
	v_dual_mov_b32 v4, v6 :: v_dual_mov_b32 v10, v1
; %bb.63:
	s_or_b32 exec_lo, exec_lo, s13
                                        ; implicit-def: $vgpr6
.LBB19_64:
	s_and_not1_saveexec_b32 s2, s2
; %bb.65:
	s_delay_alu instid0(VALU_DEP_1) | instskip(SKIP_3) | instid1(VALU_DEP_3)
	v_cmp_lt_f32_e32 vcc_lo, v6, v4
	v_cndmask_b32_e32 v1, v4, v6, vcc_lo
	v_cmp_lt_f32_e32 vcc_lo, v4, v6
	v_dual_mov_b32 v10, 1 :: v_dual_cndmask_b32 v8, v4, v6, vcc_lo
	v_mov_b32_e32 v4, v1
; %bb.66:
	s_or_b32 exec_lo, exec_lo, s2
	s_delay_alu instid0(VALU_DEP_1) | instskip(NEXT) | instid1(VALU_DEP_3)
	v_mov_b32_e32 v2, v4
	v_mov_b64_e32 v[4:5], v[8:9]
.LBB19_67:
	s_or_b32 exec_lo, exec_lo, s12
	v_mbcnt_lo_u32_b32 v1, -1, 0
	v_and_b32_e32 v8, 0xff, v10
	s_min_u32 s2, s3, 0x80
	s_delay_alu instid0(VALU_DEP_2) | instskip(SKIP_3) | instid1(VALU_DEP_1)
	v_cmp_ne_u32_e32 vcc_lo, 31, v1
	v_add_nc_u32_e32 v11, 1, v1
	s_wait_dscnt 0x0
	v_add_co_ci_u32_e64 v3, null, 0, v1, vcc_lo
	v_lshlrev_b32_e32 v3, 2, v3
	ds_bpermute_b32 v9, v3, v8
	ds_bpermute_b32 v6, v3, v2
	;; [unrolled: 1-line block ×3, first 2 shown]
	v_and_b32_e32 v3, 0x60, v0
	s_delay_alu instid0(VALU_DEP_1) | instskip(SKIP_1) | instid1(VALU_DEP_2)
	v_sub_nc_u32_e64 v5, s2, v3 clamp
	v_mov_b32_e32 v3, v4
	v_cmp_lt_u32_e32 vcc_lo, v11, v5
	v_mov_b32_e32 v11, v2
	s_and_saveexec_b32 s3, vcc_lo
	s_delay_alu instid0(SALU_CYCLE_1)
	s_xor_b32 s3, exec_lo, s3
	s_cbranch_execz .LBB19_75
; %bb.68:
	s_wait_dscnt 0x2
	v_and_b32_e32 v8, v9, v8
	s_mov_b32 s12, exec_lo
	s_delay_alu instid0(VALU_DEP_1)
	v_cmpx_ne_u32_e32 0, v8
	s_xor_b32 s12, exec_lo, s12
	s_cbranch_execz .LBB19_70
; %bb.69:
	s_wait_dscnt 0x0
	v_cmp_lt_f32_e32 vcc_lo, v4, v7
                                        ; implicit-def: $vgpr9
                                        ; implicit-def: $vgpr10
	v_cndmask_b32_e32 v7, v4, v7, vcc_lo
	v_cmp_lt_f32_e32 vcc_lo, v6, v2
	v_cndmask_b32_e32 v6, v2, v6, vcc_lo
                                        ; implicit-def: $vgpr2_vgpr3
.LBB19_70:
	s_or_saveexec_b32 s12, s12
	v_mov_b32_e32 v4, 1
	s_xor_b32 exec_lo, exec_lo, s12
	s_cbranch_execz .LBB19_74
; %bb.71:
	v_and_b32_e32 v4, 1, v10
	s_mov_b32 s13, exec_lo
	s_delay_alu instid0(VALU_DEP_1)
	v_cmpx_eq_u32_e32 1, v4
	s_cbranch_execz .LBB19_73
; %bb.72:
	s_wait_dscnt 0x0
	v_mov_b64_e32 v[6:7], v[2:3]
	v_mov_b32_e32 v9, 1
.LBB19_73:
	s_or_b32 exec_lo, exec_lo, s13
	s_delay_alu instid0(VALU_DEP_1)
	v_mov_b32_e32 v4, v9
.LBB19_74:
	s_or_b32 exec_lo, exec_lo, s12
	s_wait_dscnt 0x0
	s_delay_alu instid0(VALU_DEP_3) | instskip(NEXT) | instid1(VALU_DEP_2)
	v_mov_b64_e32 v[2:3], v[6:7]
	v_and_b32_e32 v8, 0xff, v4
	v_dual_mov_b32 v11, v6 :: v_dual_mov_b32 v4, v7
.LBB19_75:
	s_or_b32 exec_lo, exec_lo, s3
	v_cmp_gt_u32_e32 vcc_lo, 30, v1
	v_add_nc_u32_e32 v10, 2, v1
	s_mov_b32 s3, exec_lo
	s_wait_dscnt 0x1
	v_cndmask_b32_e64 v6, 0, 2, vcc_lo
	s_wait_dscnt 0x0
	s_delay_alu instid0(VALU_DEP_1)
	v_add_lshl_u32 v7, v6, v1, 2
	ds_bpermute_b32 v9, v7, v8
	ds_bpermute_b32 v6, v7, v11
	;; [unrolled: 1-line block ×3, first 2 shown]
	v_cmpx_lt_u32_e64 v10, v5
	s_cbranch_execz .LBB19_83
; %bb.76:
	s_wait_dscnt 0x2
	v_and_b32_e32 v4, v8, v9
	s_mov_b32 s12, exec_lo
	s_delay_alu instid0(VALU_DEP_1) | instskip(NEXT) | instid1(VALU_DEP_1)
	v_and_b32_e32 v4, 1, v4
	v_cmpx_eq_u32_e32 1, v4
	s_xor_b32 s12, exec_lo, s12
	s_cbranch_execz .LBB19_78
; %bb.77:
	s_wait_dscnt 0x0
	v_cmp_lt_f32_e32 vcc_lo, v3, v7
                                        ; implicit-def: $vgpr9
                                        ; implicit-def: $vgpr8
	v_cndmask_b32_e32 v7, v3, v7, vcc_lo
	v_cmp_lt_f32_e32 vcc_lo, v6, v2
	v_cndmask_b32_e32 v6, v2, v6, vcc_lo
                                        ; implicit-def: $vgpr2_vgpr3
.LBB19_78:
	s_or_saveexec_b32 s12, s12
	v_mov_b32_e32 v4, 1
	s_xor_b32 exec_lo, exec_lo, s12
	s_cbranch_execz .LBB19_82
; %bb.79:
	v_and_b32_e32 v4, 1, v8
	s_mov_b32 s13, exec_lo
	s_delay_alu instid0(VALU_DEP_1)
	v_cmpx_eq_u32_e32 1, v4
	s_cbranch_execz .LBB19_81
; %bb.80:
	s_wait_dscnt 0x0
	v_mov_b64_e32 v[6:7], v[2:3]
	v_mov_b32_e32 v9, 1
.LBB19_81:
	s_or_b32 exec_lo, exec_lo, s13
	s_delay_alu instid0(VALU_DEP_1)
	v_mov_b32_e32 v4, v9
.LBB19_82:
	s_or_b32 exec_lo, exec_lo, s12
	s_wait_dscnt 0x0
	s_delay_alu instid0(VALU_DEP_3) | instskip(NEXT) | instid1(VALU_DEP_2)
	v_mov_b64_e32 v[2:3], v[6:7]
	v_and_b32_e32 v8, 0xff, v4
	v_dual_mov_b32 v11, v6 :: v_dual_mov_b32 v4, v7
.LBB19_83:
	s_or_b32 exec_lo, exec_lo, s3
	v_cmp_gt_u32_e32 vcc_lo, 28, v1
	v_add_nc_u32_e32 v10, 4, v1
	s_mov_b32 s3, exec_lo
	s_wait_dscnt 0x1
	v_cndmask_b32_e64 v6, 0, 4, vcc_lo
	s_wait_dscnt 0x0
	s_delay_alu instid0(VALU_DEP_1)
	v_add_lshl_u32 v7, v6, v1, 2
	ds_bpermute_b32 v9, v7, v8
	ds_bpermute_b32 v6, v7, v11
	;; [unrolled: 1-line block ×3, first 2 shown]
	v_cmpx_lt_u32_e64 v10, v5
	s_cbranch_execz .LBB19_91
; %bb.84:
	s_wait_dscnt 0x2
	v_and_b32_e32 v4, v8, v9
	s_mov_b32 s12, exec_lo
	s_delay_alu instid0(VALU_DEP_1) | instskip(NEXT) | instid1(VALU_DEP_1)
	v_and_b32_e32 v4, 1, v4
	v_cmpx_eq_u32_e32 1, v4
	s_xor_b32 s12, exec_lo, s12
	s_cbranch_execz .LBB19_86
; %bb.85:
	s_wait_dscnt 0x0
	v_cmp_lt_f32_e32 vcc_lo, v3, v7
                                        ; implicit-def: $vgpr9
                                        ; implicit-def: $vgpr8
	v_cndmask_b32_e32 v7, v3, v7, vcc_lo
	v_cmp_gt_f32_e32 vcc_lo, v2, v6
	v_cndmask_b32_e32 v6, v2, v6, vcc_lo
                                        ; implicit-def: $vgpr2_vgpr3
.LBB19_86:
	s_or_saveexec_b32 s12, s12
	v_mov_b32_e32 v4, 1
	s_xor_b32 exec_lo, exec_lo, s12
	s_cbranch_execz .LBB19_90
; %bb.87:
	v_and_b32_e32 v4, 1, v8
	s_mov_b32 s13, exec_lo
	s_delay_alu instid0(VALU_DEP_1)
	v_cmpx_eq_u32_e32 1, v4
	s_cbranch_execz .LBB19_89
; %bb.88:
	s_wait_dscnt 0x0
	v_mov_b64_e32 v[6:7], v[2:3]
	v_mov_b32_e32 v9, 1
.LBB19_89:
	s_or_b32 exec_lo, exec_lo, s13
	s_delay_alu instid0(VALU_DEP_1)
	v_mov_b32_e32 v4, v9
.LBB19_90:
	s_or_b32 exec_lo, exec_lo, s12
	s_wait_dscnt 0x0
	s_delay_alu instid0(VALU_DEP_3) | instskip(NEXT) | instid1(VALU_DEP_2)
	v_mov_b64_e32 v[2:3], v[6:7]
	v_and_b32_e32 v8, 0xff, v4
	v_dual_mov_b32 v11, v6 :: v_dual_mov_b32 v4, v7
.LBB19_91:
	s_or_b32 exec_lo, exec_lo, s3
	v_cmp_gt_u32_e32 vcc_lo, 24, v1
	v_add_nc_u32_e32 v10, 8, v1
	s_mov_b32 s3, exec_lo
	s_wait_dscnt 0x1
	v_cndmask_b32_e64 v6, 0, 8, vcc_lo
	s_wait_dscnt 0x0
	s_delay_alu instid0(VALU_DEP_1)
	v_add_lshl_u32 v7, v6, v1, 2
	ds_bpermute_b32 v9, v7, v8
	ds_bpermute_b32 v6, v7, v11
	;; [unrolled: 1-line block ×3, first 2 shown]
	v_cmpx_lt_u32_e64 v10, v5
	s_cbranch_execz .LBB19_99
; %bb.92:
	s_wait_dscnt 0x2
	v_and_b32_e32 v4, v8, v9
	s_mov_b32 s12, exec_lo
	s_delay_alu instid0(VALU_DEP_1) | instskip(NEXT) | instid1(VALU_DEP_1)
	v_and_b32_e32 v4, 1, v4
	v_cmpx_eq_u32_e32 1, v4
	s_xor_b32 s12, exec_lo, s12
	s_cbranch_execz .LBB19_94
; %bb.93:
	s_wait_dscnt 0x0
	v_cmp_gt_f32_e32 vcc_lo, v7, v3
                                        ; implicit-def: $vgpr9
                                        ; implicit-def: $vgpr8
	v_cndmask_b32_e32 v7, v3, v7, vcc_lo
	v_cmp_gt_f32_e32 vcc_lo, v2, v6
	v_cndmask_b32_e32 v6, v2, v6, vcc_lo
                                        ; implicit-def: $vgpr2_vgpr3
.LBB19_94:
	s_or_saveexec_b32 s12, s12
	v_mov_b32_e32 v4, 1
	s_xor_b32 exec_lo, exec_lo, s12
	s_cbranch_execz .LBB19_98
; %bb.95:
	v_and_b32_e32 v4, 1, v8
	s_mov_b32 s13, exec_lo
	s_delay_alu instid0(VALU_DEP_1)
	v_cmpx_eq_u32_e32 1, v4
	s_cbranch_execz .LBB19_97
; %bb.96:
	s_wait_dscnt 0x0
	v_mov_b64_e32 v[6:7], v[2:3]
	v_mov_b32_e32 v9, 1
.LBB19_97:
	s_or_b32 exec_lo, exec_lo, s13
	s_delay_alu instid0(VALU_DEP_1)
	v_mov_b32_e32 v4, v9
.LBB19_98:
	s_or_b32 exec_lo, exec_lo, s12
	s_wait_dscnt 0x0
	s_delay_alu instid0(VALU_DEP_3) | instskip(NEXT) | instid1(VALU_DEP_2)
	v_mov_b64_e32 v[2:3], v[6:7]
	v_and_b32_e32 v8, 0xff, v4
	v_dual_mov_b32 v11, v6 :: v_dual_mov_b32 v4, v7
.LBB19_99:
	s_or_b32 exec_lo, exec_lo, s3
	s_wait_dscnt 0x2
	v_lshlrev_b32_e32 v9, 2, v1
	s_wait_dscnt 0x0
	s_delay_alu instid0(VALU_DEP_1) | instskip(SKIP_4) | instid1(VALU_DEP_1)
	v_or_b32_e32 v7, 64, v9
	ds_bpermute_b32 v10, v7, v8
	ds_bpermute_b32 v6, v7, v11
	ds_bpermute_b32 v7, v7, v4
	v_add_nc_u32_e32 v4, 16, v1
	v_cmp_lt_u32_e32 vcc_lo, v4, v5
	v_mov_b32_e32 v4, v8
	s_and_saveexec_b32 s3, vcc_lo
	s_cbranch_execz .LBB19_107
; %bb.100:
	s_wait_dscnt 0x2
	v_and_b32_e32 v4, v8, v10
	s_mov_b32 s12, exec_lo
	s_delay_alu instid0(VALU_DEP_1) | instskip(NEXT) | instid1(VALU_DEP_1)
	v_and_b32_e32 v4, 1, v4
	v_cmpx_eq_u32_e32 1, v4
	s_xor_b32 s12, exec_lo, s12
	s_cbranch_execz .LBB19_102
; %bb.101:
	s_wait_dscnt 0x0
	v_cmp_gt_f32_e32 vcc_lo, v7, v3
                                        ; implicit-def: $vgpr10
                                        ; implicit-def: $vgpr8
	v_cndmask_b32_e32 v7, v3, v7, vcc_lo
	v_cmp_gt_f32_e32 vcc_lo, v2, v6
	v_cndmask_b32_e32 v6, v2, v6, vcc_lo
                                        ; implicit-def: $vgpr2_vgpr3
.LBB19_102:
	s_or_saveexec_b32 s12, s12
	v_mov_b32_e32 v4, 1
	s_xor_b32 exec_lo, exec_lo, s12
	s_cbranch_execz .LBB19_106
; %bb.103:
	v_and_b32_e32 v4, 1, v8
	s_mov_b32 s13, exec_lo
	s_delay_alu instid0(VALU_DEP_1)
	v_cmpx_eq_u32_e32 1, v4
	s_cbranch_execz .LBB19_105
; %bb.104:
	s_wait_dscnt 0x0
	v_mov_b64_e32 v[6:7], v[2:3]
	v_mov_b32_e32 v10, 1
.LBB19_105:
	s_or_b32 exec_lo, exec_lo, s13
	s_delay_alu instid0(VALU_DEP_1)
	v_mov_b32_e32 v4, v10
.LBB19_106:
	s_or_b32 exec_lo, exec_lo, s12
	s_wait_dscnt 0x0
	s_delay_alu instid0(VALU_DEP_3) | instskip(NEXT) | instid1(VALU_DEP_2)
	v_mov_b64_e32 v[2:3], v[6:7]
	v_and_b32_e32 v8, 0xff, v4
.LBB19_107:
	s_or_b32 exec_lo, exec_lo, s3
	s_delay_alu instid0(SALU_CYCLE_1)
	s_mov_b32 s3, exec_lo
	v_cmpx_eq_u32_e32 0, v1
	s_cbranch_execz .LBB19_109
; %bb.108:
	v_lshrrev_b32_e32 v5, 5, v0
	s_delay_alu instid0(VALU_DEP_1)
	v_mul_u32_u24_e32 v5, 12, v5
	ds_store_b8 v5, v4
	ds_store_2addr_b32 v5, v2, v3 offset0:1 offset1:2
.LBB19_109:
	s_or_b32 exec_lo, exec_lo, s3
	s_delay_alu instid0(SALU_CYCLE_1)
	s_mov_b32 s3, exec_lo
	s_wait_dscnt 0x0
	s_barrier_signal -1
	s_barrier_wait -1
	v_cmpx_gt_u32_e32 4, v0
	s_cbranch_execz .LBB19_127
; %bb.110:
	v_mul_u32_u24_e32 v2, 12, v1
	v_and_b32_e32 v6, 3, v1
	s_add_co_i32 s2, s2, 31
	ds_load_u8 v7, v2
	ds_load_2addr_b32 v[2:3], v2 offset0:1 offset1:2
	v_cmp_ne_u32_e32 vcc_lo, 3, v6
	s_lshr_b32 s2, s2, 5
	v_add_co_ci_u32_e64 v1, null, 0, v1, vcc_lo
	s_delay_alu instid0(VALU_DEP_1)
	v_dual_lshlrev_b32 v5, 2, v1 :: v_dual_add_nc_u32 v10, 1, v6
	s_wait_dscnt 0x1
	v_and_b32_e32 v8, 0xff, v7
	s_wait_dscnt 0x0
	ds_bpermute_b32 v4, v5, v2
	v_mov_b32_e32 v11, v3
	v_cmp_gt_u32_e32 vcc_lo, s2, v10
	v_mov_b32_e32 v10, v2
	ds_bpermute_b32 v1, v5, v8
	ds_bpermute_b32 v5, v5, v3
	s_and_saveexec_b32 s12, vcc_lo
	s_cbranch_execz .LBB19_118
; %bb.111:
	s_wait_dscnt 0x1
	v_and_b32_e32 v8, v8, v1
	s_mov_b32 s13, exec_lo
	s_delay_alu instid0(VALU_DEP_1) | instskip(NEXT) | instid1(VALU_DEP_1)
	v_and_b32_e32 v8, 1, v8
	v_cmpx_eq_u32_e32 1, v8
	s_xor_b32 s13, exec_lo, s13
	s_cbranch_execz .LBB19_113
; %bb.112:
	s_wait_dscnt 0x0
	v_cmp_gt_f32_e32 vcc_lo, v5, v3
                                        ; implicit-def: $vgpr1
                                        ; implicit-def: $vgpr7
	v_cndmask_b32_e32 v5, v3, v5, vcc_lo
	v_cmp_gt_f32_e32 vcc_lo, v2, v4
	v_cndmask_b32_e32 v4, v2, v4, vcc_lo
                                        ; implicit-def: $vgpr2_vgpr3
.LBB19_113:
	s_or_saveexec_b32 s13, s13
	v_mov_b32_e32 v8, 1
	s_xor_b32 exec_lo, exec_lo, s13
	s_cbranch_execz .LBB19_117
; %bb.114:
	v_and_b32_e32 v7, 1, v7
	s_mov_b32 s14, exec_lo
	s_delay_alu instid0(VALU_DEP_1)
	v_cmpx_eq_u32_e32 1, v7
	s_cbranch_execz .LBB19_116
; %bb.115:
	s_wait_dscnt 0x0
	v_mov_b64_e32 v[4:5], v[2:3]
	v_mov_b32_e32 v1, 1
.LBB19_116:
	s_or_b32 exec_lo, exec_lo, s14
	s_delay_alu instid0(VALU_DEP_1)
	v_mov_b32_e32 v8, v1
.LBB19_117:
	s_or_b32 exec_lo, exec_lo, s13
	s_wait_dscnt 0x0
	s_delay_alu instid0(VALU_DEP_3) | instskip(NEXT) | instid1(VALU_DEP_2)
	v_mov_b64_e32 v[2:3], v[4:5]
	v_and_b32_e32 v8, 0xff, v8
	v_dual_mov_b32 v10, v4 :: v_dual_mov_b32 v11, v5
.LBB19_118:
	s_or_b32 exec_lo, exec_lo, s12
	s_wait_dscnt 0x0
	v_dual_add_nc_u32 v6, 2, v6 :: v_dual_bitop2_b32 v5, 8, v9 bitop3:0x54
	ds_bpermute_b32 v1, v5, v8
	ds_bpermute_b32 v4, v5, v10
	;; [unrolled: 1-line block ×3, first 2 shown]
	v_cmp_gt_u32_e32 vcc_lo, s2, v6
	s_and_saveexec_b32 s2, vcc_lo
	s_cbranch_execz .LBB19_126
; %bb.119:
	s_wait_dscnt 0x2
	v_and_b32_e32 v6, v8, v1
	s_mov_b32 s12, exec_lo
	s_delay_alu instid0(VALU_DEP_1) | instskip(NEXT) | instid1(VALU_DEP_1)
	v_and_b32_e32 v6, 1, v6
	v_cmpx_eq_u32_e32 1, v6
	s_xor_b32 s12, exec_lo, s12
	s_cbranch_execz .LBB19_121
; %bb.120:
	s_wait_dscnt 0x0
	v_cmp_gt_f32_e32 vcc_lo, v5, v3
                                        ; implicit-def: $vgpr1
                                        ; implicit-def: $vgpr8
	v_cndmask_b32_e32 v5, v3, v5, vcc_lo
	v_cmp_gt_f32_e32 vcc_lo, v2, v4
	v_cndmask_b32_e32 v4, v2, v4, vcc_lo
                                        ; implicit-def: $vgpr2_vgpr3
.LBB19_121:
	s_or_saveexec_b32 s12, s12
	v_mov_b32_e32 v6, 1
	s_xor_b32 exec_lo, exec_lo, s12
	s_cbranch_execz .LBB19_125
; %bb.122:
	v_and_b32_e32 v6, 1, v8
	s_mov_b32 s13, exec_lo
	s_delay_alu instid0(VALU_DEP_1)
	v_cmpx_eq_u32_e32 1, v6
	s_cbranch_execz .LBB19_124
; %bb.123:
	s_wait_dscnt 0x0
	v_mov_b64_e32 v[4:5], v[2:3]
	v_mov_b32_e32 v1, 1
.LBB19_124:
	s_or_b32 exec_lo, exec_lo, s13
	s_delay_alu instid0(VALU_DEP_1)
	v_mov_b32_e32 v6, v1
.LBB19_125:
	s_or_b32 exec_lo, exec_lo, s12
	s_wait_dscnt 0x0
	s_delay_alu instid0(VALU_DEP_3) | instskip(NEXT) | instid1(VALU_DEP_2)
	v_mov_b64_e32 v[2:3], v[4:5]
	v_mov_b32_e32 v8, v6
.LBB19_126:
	s_or_b32 exec_lo, exec_lo, s2
.LBB19_127:
	s_delay_alu instid0(SALU_CYCLE_1)
	s_or_b32 exec_lo, exec_lo, s3
.LBB19_128:
	s_wait_xcnt 0x0
	s_load_b32 s0, s[0:1], 0x40
	s_wait_xcnt 0x0
	s_mov_b32 s1, exec_lo
	v_cmpx_eq_u32_e32 0, v0
	s_cbranch_execz .LBB19_130
; %bb.129:
	s_cmp_eq_u64 s[6:7], 0
	s_mul_u64 s[2:3], s[16:17], s[10:11]
	s_cselect_b32 s6, -1, 0
	s_mul_u64 s[2:3], s[2:3], 12
	s_wait_dscnt 0x1
	s_wait_kmcnt 0x0
	v_cndmask_b32_e64 v4, v8, s0, s6
	s_wait_dscnt 0x0
	v_mov_b32_e32 v5, 0
	s_add_nc_u64 s[2:3], s[8:9], s[2:3]
	s_mul_u64 s[0:1], s[18:19], 12
	v_cndmask_b32_e64 v1, v3, s5, s6
	v_cndmask_b32_e64 v0, v2, s4, s6
	s_add_nc_u64 s[0:1], s[2:3], s[0:1]
	s_clause 0x1
	global_store_b8 v5, v4, s[0:1]
	global_store_b64 v5, v[0:1], s[0:1] offset:4
.LBB19_130:
	s_endpgm
	.section	.rodata,"a",@progbits
	.p2align	6, 0x0
	.amdhsa_kernel _ZN7rocprim17ROCPRIM_400000_NS6detail17trampoline_kernelINS0_14default_configENS1_22reduce_config_selectorIN6thrust23THRUST_200600_302600_NS5tupleIbffNS6_9null_typeES8_S8_S8_S8_S8_S8_EEEEZNS1_11reduce_implILb1ES3_NS6_11hip_rocprim26transform_input_iterator_tIS9_NS6_12zip_iteratorINS7_INS6_17counting_iteratorIiNS6_11use_defaultESG_SG_EENS6_6detail15normal_iteratorINS6_10device_ptrIfEEEES8_S8_S8_S8_S8_S8_S8_S8_EEEE15transform_tupleIifEEEPS9_S9_12reduce_tupleIifEEE10hipError_tPvRmT1_T2_T3_mT4_P12ihipStream_tbEUlT_E0_NS1_11comp_targetILNS1_3genE0ELNS1_11target_archE4294967295ELNS1_3gpuE0ELNS1_3repE0EEENS1_30default_config_static_selectorELNS0_4arch9wavefront6targetE0EEEvSY_
		.amdhsa_group_segment_fixed_size 96
		.amdhsa_private_segment_fixed_size 0
		.amdhsa_kernarg_size 80
		.amdhsa_user_sgpr_count 2
		.amdhsa_user_sgpr_dispatch_ptr 0
		.amdhsa_user_sgpr_queue_ptr 0
		.amdhsa_user_sgpr_kernarg_segment_ptr 1
		.amdhsa_user_sgpr_dispatch_id 0
		.amdhsa_user_sgpr_kernarg_preload_length 0
		.amdhsa_user_sgpr_kernarg_preload_offset 0
		.amdhsa_user_sgpr_private_segment_size 0
		.amdhsa_wavefront_size32 1
		.amdhsa_uses_dynamic_stack 0
		.amdhsa_enable_private_segment 0
		.amdhsa_system_sgpr_workgroup_id_x 1
		.amdhsa_system_sgpr_workgroup_id_y 0
		.amdhsa_system_sgpr_workgroup_id_z 0
		.amdhsa_system_sgpr_workgroup_info 0
		.amdhsa_system_vgpr_workitem_id 0
		.amdhsa_next_free_vgpr 12
		.amdhsa_next_free_sgpr 24
		.amdhsa_named_barrier_count 0
		.amdhsa_reserve_vcc 1
		.amdhsa_float_round_mode_32 0
		.amdhsa_float_round_mode_16_64 0
		.amdhsa_float_denorm_mode_32 3
		.amdhsa_float_denorm_mode_16_64 3
		.amdhsa_fp16_overflow 0
		.amdhsa_memory_ordered 1
		.amdhsa_forward_progress 1
		.amdhsa_inst_pref_size 33
		.amdhsa_round_robin_scheduling 0
		.amdhsa_exception_fp_ieee_invalid_op 0
		.amdhsa_exception_fp_denorm_src 0
		.amdhsa_exception_fp_ieee_div_zero 0
		.amdhsa_exception_fp_ieee_overflow 0
		.amdhsa_exception_fp_ieee_underflow 0
		.amdhsa_exception_fp_ieee_inexact 0
		.amdhsa_exception_int_div_zero 0
	.end_amdhsa_kernel
	.section	.text._ZN7rocprim17ROCPRIM_400000_NS6detail17trampoline_kernelINS0_14default_configENS1_22reduce_config_selectorIN6thrust23THRUST_200600_302600_NS5tupleIbffNS6_9null_typeES8_S8_S8_S8_S8_S8_EEEEZNS1_11reduce_implILb1ES3_NS6_11hip_rocprim26transform_input_iterator_tIS9_NS6_12zip_iteratorINS7_INS6_17counting_iteratorIiNS6_11use_defaultESG_SG_EENS6_6detail15normal_iteratorINS6_10device_ptrIfEEEES8_S8_S8_S8_S8_S8_S8_S8_EEEE15transform_tupleIifEEEPS9_S9_12reduce_tupleIifEEE10hipError_tPvRmT1_T2_T3_mT4_P12ihipStream_tbEUlT_E0_NS1_11comp_targetILNS1_3genE0ELNS1_11target_archE4294967295ELNS1_3gpuE0ELNS1_3repE0EEENS1_30default_config_static_selectorELNS0_4arch9wavefront6targetE0EEEvSY_,"axG",@progbits,_ZN7rocprim17ROCPRIM_400000_NS6detail17trampoline_kernelINS0_14default_configENS1_22reduce_config_selectorIN6thrust23THRUST_200600_302600_NS5tupleIbffNS6_9null_typeES8_S8_S8_S8_S8_S8_EEEEZNS1_11reduce_implILb1ES3_NS6_11hip_rocprim26transform_input_iterator_tIS9_NS6_12zip_iteratorINS7_INS6_17counting_iteratorIiNS6_11use_defaultESG_SG_EENS6_6detail15normal_iteratorINS6_10device_ptrIfEEEES8_S8_S8_S8_S8_S8_S8_S8_EEEE15transform_tupleIifEEEPS9_S9_12reduce_tupleIifEEE10hipError_tPvRmT1_T2_T3_mT4_P12ihipStream_tbEUlT_E0_NS1_11comp_targetILNS1_3genE0ELNS1_11target_archE4294967295ELNS1_3gpuE0ELNS1_3repE0EEENS1_30default_config_static_selectorELNS0_4arch9wavefront6targetE0EEEvSY_,comdat
.Lfunc_end19:
	.size	_ZN7rocprim17ROCPRIM_400000_NS6detail17trampoline_kernelINS0_14default_configENS1_22reduce_config_selectorIN6thrust23THRUST_200600_302600_NS5tupleIbffNS6_9null_typeES8_S8_S8_S8_S8_S8_EEEEZNS1_11reduce_implILb1ES3_NS6_11hip_rocprim26transform_input_iterator_tIS9_NS6_12zip_iteratorINS7_INS6_17counting_iteratorIiNS6_11use_defaultESG_SG_EENS6_6detail15normal_iteratorINS6_10device_ptrIfEEEES8_S8_S8_S8_S8_S8_S8_S8_EEEE15transform_tupleIifEEEPS9_S9_12reduce_tupleIifEEE10hipError_tPvRmT1_T2_T3_mT4_P12ihipStream_tbEUlT_E0_NS1_11comp_targetILNS1_3genE0ELNS1_11target_archE4294967295ELNS1_3gpuE0ELNS1_3repE0EEENS1_30default_config_static_selectorELNS0_4arch9wavefront6targetE0EEEvSY_, .Lfunc_end19-_ZN7rocprim17ROCPRIM_400000_NS6detail17trampoline_kernelINS0_14default_configENS1_22reduce_config_selectorIN6thrust23THRUST_200600_302600_NS5tupleIbffNS6_9null_typeES8_S8_S8_S8_S8_S8_EEEEZNS1_11reduce_implILb1ES3_NS6_11hip_rocprim26transform_input_iterator_tIS9_NS6_12zip_iteratorINS7_INS6_17counting_iteratorIiNS6_11use_defaultESG_SG_EENS6_6detail15normal_iteratorINS6_10device_ptrIfEEEES8_S8_S8_S8_S8_S8_S8_S8_EEEE15transform_tupleIifEEEPS9_S9_12reduce_tupleIifEEE10hipError_tPvRmT1_T2_T3_mT4_P12ihipStream_tbEUlT_E0_NS1_11comp_targetILNS1_3genE0ELNS1_11target_archE4294967295ELNS1_3gpuE0ELNS1_3repE0EEENS1_30default_config_static_selectorELNS0_4arch9wavefront6targetE0EEEvSY_
                                        ; -- End function
	.set _ZN7rocprim17ROCPRIM_400000_NS6detail17trampoline_kernelINS0_14default_configENS1_22reduce_config_selectorIN6thrust23THRUST_200600_302600_NS5tupleIbffNS6_9null_typeES8_S8_S8_S8_S8_S8_EEEEZNS1_11reduce_implILb1ES3_NS6_11hip_rocprim26transform_input_iterator_tIS9_NS6_12zip_iteratorINS7_INS6_17counting_iteratorIiNS6_11use_defaultESG_SG_EENS6_6detail15normal_iteratorINS6_10device_ptrIfEEEES8_S8_S8_S8_S8_S8_S8_S8_EEEE15transform_tupleIifEEEPS9_S9_12reduce_tupleIifEEE10hipError_tPvRmT1_T2_T3_mT4_P12ihipStream_tbEUlT_E0_NS1_11comp_targetILNS1_3genE0ELNS1_11target_archE4294967295ELNS1_3gpuE0ELNS1_3repE0EEENS1_30default_config_static_selectorELNS0_4arch9wavefront6targetE0EEEvSY_.num_vgpr, 12
	.set _ZN7rocprim17ROCPRIM_400000_NS6detail17trampoline_kernelINS0_14default_configENS1_22reduce_config_selectorIN6thrust23THRUST_200600_302600_NS5tupleIbffNS6_9null_typeES8_S8_S8_S8_S8_S8_EEEEZNS1_11reduce_implILb1ES3_NS6_11hip_rocprim26transform_input_iterator_tIS9_NS6_12zip_iteratorINS7_INS6_17counting_iteratorIiNS6_11use_defaultESG_SG_EENS6_6detail15normal_iteratorINS6_10device_ptrIfEEEES8_S8_S8_S8_S8_S8_S8_S8_EEEE15transform_tupleIifEEEPS9_S9_12reduce_tupleIifEEE10hipError_tPvRmT1_T2_T3_mT4_P12ihipStream_tbEUlT_E0_NS1_11comp_targetILNS1_3genE0ELNS1_11target_archE4294967295ELNS1_3gpuE0ELNS1_3repE0EEENS1_30default_config_static_selectorELNS0_4arch9wavefront6targetE0EEEvSY_.num_agpr, 0
	.set _ZN7rocprim17ROCPRIM_400000_NS6detail17trampoline_kernelINS0_14default_configENS1_22reduce_config_selectorIN6thrust23THRUST_200600_302600_NS5tupleIbffNS6_9null_typeES8_S8_S8_S8_S8_S8_EEEEZNS1_11reduce_implILb1ES3_NS6_11hip_rocprim26transform_input_iterator_tIS9_NS6_12zip_iteratorINS7_INS6_17counting_iteratorIiNS6_11use_defaultESG_SG_EENS6_6detail15normal_iteratorINS6_10device_ptrIfEEEES8_S8_S8_S8_S8_S8_S8_S8_EEEE15transform_tupleIifEEEPS9_S9_12reduce_tupleIifEEE10hipError_tPvRmT1_T2_T3_mT4_P12ihipStream_tbEUlT_E0_NS1_11comp_targetILNS1_3genE0ELNS1_11target_archE4294967295ELNS1_3gpuE0ELNS1_3repE0EEENS1_30default_config_static_selectorELNS0_4arch9wavefront6targetE0EEEvSY_.numbered_sgpr, 24
	.set _ZN7rocprim17ROCPRIM_400000_NS6detail17trampoline_kernelINS0_14default_configENS1_22reduce_config_selectorIN6thrust23THRUST_200600_302600_NS5tupleIbffNS6_9null_typeES8_S8_S8_S8_S8_S8_EEEEZNS1_11reduce_implILb1ES3_NS6_11hip_rocprim26transform_input_iterator_tIS9_NS6_12zip_iteratorINS7_INS6_17counting_iteratorIiNS6_11use_defaultESG_SG_EENS6_6detail15normal_iteratorINS6_10device_ptrIfEEEES8_S8_S8_S8_S8_S8_S8_S8_EEEE15transform_tupleIifEEEPS9_S9_12reduce_tupleIifEEE10hipError_tPvRmT1_T2_T3_mT4_P12ihipStream_tbEUlT_E0_NS1_11comp_targetILNS1_3genE0ELNS1_11target_archE4294967295ELNS1_3gpuE0ELNS1_3repE0EEENS1_30default_config_static_selectorELNS0_4arch9wavefront6targetE0EEEvSY_.num_named_barrier, 0
	.set _ZN7rocprim17ROCPRIM_400000_NS6detail17trampoline_kernelINS0_14default_configENS1_22reduce_config_selectorIN6thrust23THRUST_200600_302600_NS5tupleIbffNS6_9null_typeES8_S8_S8_S8_S8_S8_EEEEZNS1_11reduce_implILb1ES3_NS6_11hip_rocprim26transform_input_iterator_tIS9_NS6_12zip_iteratorINS7_INS6_17counting_iteratorIiNS6_11use_defaultESG_SG_EENS6_6detail15normal_iteratorINS6_10device_ptrIfEEEES8_S8_S8_S8_S8_S8_S8_S8_EEEE15transform_tupleIifEEEPS9_S9_12reduce_tupleIifEEE10hipError_tPvRmT1_T2_T3_mT4_P12ihipStream_tbEUlT_E0_NS1_11comp_targetILNS1_3genE0ELNS1_11target_archE4294967295ELNS1_3gpuE0ELNS1_3repE0EEENS1_30default_config_static_selectorELNS0_4arch9wavefront6targetE0EEEvSY_.private_seg_size, 0
	.set _ZN7rocprim17ROCPRIM_400000_NS6detail17trampoline_kernelINS0_14default_configENS1_22reduce_config_selectorIN6thrust23THRUST_200600_302600_NS5tupleIbffNS6_9null_typeES8_S8_S8_S8_S8_S8_EEEEZNS1_11reduce_implILb1ES3_NS6_11hip_rocprim26transform_input_iterator_tIS9_NS6_12zip_iteratorINS7_INS6_17counting_iteratorIiNS6_11use_defaultESG_SG_EENS6_6detail15normal_iteratorINS6_10device_ptrIfEEEES8_S8_S8_S8_S8_S8_S8_S8_EEEE15transform_tupleIifEEEPS9_S9_12reduce_tupleIifEEE10hipError_tPvRmT1_T2_T3_mT4_P12ihipStream_tbEUlT_E0_NS1_11comp_targetILNS1_3genE0ELNS1_11target_archE4294967295ELNS1_3gpuE0ELNS1_3repE0EEENS1_30default_config_static_selectorELNS0_4arch9wavefront6targetE0EEEvSY_.uses_vcc, 1
	.set _ZN7rocprim17ROCPRIM_400000_NS6detail17trampoline_kernelINS0_14default_configENS1_22reduce_config_selectorIN6thrust23THRUST_200600_302600_NS5tupleIbffNS6_9null_typeES8_S8_S8_S8_S8_S8_EEEEZNS1_11reduce_implILb1ES3_NS6_11hip_rocprim26transform_input_iterator_tIS9_NS6_12zip_iteratorINS7_INS6_17counting_iteratorIiNS6_11use_defaultESG_SG_EENS6_6detail15normal_iteratorINS6_10device_ptrIfEEEES8_S8_S8_S8_S8_S8_S8_S8_EEEE15transform_tupleIifEEEPS9_S9_12reduce_tupleIifEEE10hipError_tPvRmT1_T2_T3_mT4_P12ihipStream_tbEUlT_E0_NS1_11comp_targetILNS1_3genE0ELNS1_11target_archE4294967295ELNS1_3gpuE0ELNS1_3repE0EEENS1_30default_config_static_selectorELNS0_4arch9wavefront6targetE0EEEvSY_.uses_flat_scratch, 0
	.set _ZN7rocprim17ROCPRIM_400000_NS6detail17trampoline_kernelINS0_14default_configENS1_22reduce_config_selectorIN6thrust23THRUST_200600_302600_NS5tupleIbffNS6_9null_typeES8_S8_S8_S8_S8_S8_EEEEZNS1_11reduce_implILb1ES3_NS6_11hip_rocprim26transform_input_iterator_tIS9_NS6_12zip_iteratorINS7_INS6_17counting_iteratorIiNS6_11use_defaultESG_SG_EENS6_6detail15normal_iteratorINS6_10device_ptrIfEEEES8_S8_S8_S8_S8_S8_S8_S8_EEEE15transform_tupleIifEEEPS9_S9_12reduce_tupleIifEEE10hipError_tPvRmT1_T2_T3_mT4_P12ihipStream_tbEUlT_E0_NS1_11comp_targetILNS1_3genE0ELNS1_11target_archE4294967295ELNS1_3gpuE0ELNS1_3repE0EEENS1_30default_config_static_selectorELNS0_4arch9wavefront6targetE0EEEvSY_.has_dyn_sized_stack, 0
	.set _ZN7rocprim17ROCPRIM_400000_NS6detail17trampoline_kernelINS0_14default_configENS1_22reduce_config_selectorIN6thrust23THRUST_200600_302600_NS5tupleIbffNS6_9null_typeES8_S8_S8_S8_S8_S8_EEEEZNS1_11reduce_implILb1ES3_NS6_11hip_rocprim26transform_input_iterator_tIS9_NS6_12zip_iteratorINS7_INS6_17counting_iteratorIiNS6_11use_defaultESG_SG_EENS6_6detail15normal_iteratorINS6_10device_ptrIfEEEES8_S8_S8_S8_S8_S8_S8_S8_EEEE15transform_tupleIifEEEPS9_S9_12reduce_tupleIifEEE10hipError_tPvRmT1_T2_T3_mT4_P12ihipStream_tbEUlT_E0_NS1_11comp_targetILNS1_3genE0ELNS1_11target_archE4294967295ELNS1_3gpuE0ELNS1_3repE0EEENS1_30default_config_static_selectorELNS0_4arch9wavefront6targetE0EEEvSY_.has_recursion, 0
	.set _ZN7rocprim17ROCPRIM_400000_NS6detail17trampoline_kernelINS0_14default_configENS1_22reduce_config_selectorIN6thrust23THRUST_200600_302600_NS5tupleIbffNS6_9null_typeES8_S8_S8_S8_S8_S8_EEEEZNS1_11reduce_implILb1ES3_NS6_11hip_rocprim26transform_input_iterator_tIS9_NS6_12zip_iteratorINS7_INS6_17counting_iteratorIiNS6_11use_defaultESG_SG_EENS6_6detail15normal_iteratorINS6_10device_ptrIfEEEES8_S8_S8_S8_S8_S8_S8_S8_EEEE15transform_tupleIifEEEPS9_S9_12reduce_tupleIifEEE10hipError_tPvRmT1_T2_T3_mT4_P12ihipStream_tbEUlT_E0_NS1_11comp_targetILNS1_3genE0ELNS1_11target_archE4294967295ELNS1_3gpuE0ELNS1_3repE0EEENS1_30default_config_static_selectorELNS0_4arch9wavefront6targetE0EEEvSY_.has_indirect_call, 0
	.section	.AMDGPU.csdata,"",@progbits
; Kernel info:
; codeLenInByte = 4220
; TotalNumSgprs: 26
; NumVgprs: 12
; ScratchSize: 0
; MemoryBound: 0
; FloatMode: 240
; IeeeMode: 1
; LDSByteSize: 96 bytes/workgroup (compile time only)
; SGPRBlocks: 0
; VGPRBlocks: 0
; NumSGPRsForWavesPerEU: 26
; NumVGPRsForWavesPerEU: 12
; NamedBarCnt: 0
; Occupancy: 16
; WaveLimiterHint : 1
; COMPUTE_PGM_RSRC2:SCRATCH_EN: 0
; COMPUTE_PGM_RSRC2:USER_SGPR: 2
; COMPUTE_PGM_RSRC2:TRAP_HANDLER: 0
; COMPUTE_PGM_RSRC2:TGID_X_EN: 1
; COMPUTE_PGM_RSRC2:TGID_Y_EN: 0
; COMPUTE_PGM_RSRC2:TGID_Z_EN: 0
; COMPUTE_PGM_RSRC2:TIDIG_COMP_CNT: 0
	.section	.text._ZN7rocprim17ROCPRIM_400000_NS6detail17trampoline_kernelINS0_14default_configENS1_22reduce_config_selectorIN6thrust23THRUST_200600_302600_NS5tupleIbffNS6_9null_typeES8_S8_S8_S8_S8_S8_EEEEZNS1_11reduce_implILb1ES3_NS6_11hip_rocprim26transform_input_iterator_tIS9_NS6_12zip_iteratorINS7_INS6_17counting_iteratorIiNS6_11use_defaultESG_SG_EENS6_6detail15normal_iteratorINS6_10device_ptrIfEEEES8_S8_S8_S8_S8_S8_S8_S8_EEEE15transform_tupleIifEEEPS9_S9_12reduce_tupleIifEEE10hipError_tPvRmT1_T2_T3_mT4_P12ihipStream_tbEUlT_E0_NS1_11comp_targetILNS1_3genE5ELNS1_11target_archE942ELNS1_3gpuE9ELNS1_3repE0EEENS1_30default_config_static_selectorELNS0_4arch9wavefront6targetE0EEEvSY_,"axG",@progbits,_ZN7rocprim17ROCPRIM_400000_NS6detail17trampoline_kernelINS0_14default_configENS1_22reduce_config_selectorIN6thrust23THRUST_200600_302600_NS5tupleIbffNS6_9null_typeES8_S8_S8_S8_S8_S8_EEEEZNS1_11reduce_implILb1ES3_NS6_11hip_rocprim26transform_input_iterator_tIS9_NS6_12zip_iteratorINS7_INS6_17counting_iteratorIiNS6_11use_defaultESG_SG_EENS6_6detail15normal_iteratorINS6_10device_ptrIfEEEES8_S8_S8_S8_S8_S8_S8_S8_EEEE15transform_tupleIifEEEPS9_S9_12reduce_tupleIifEEE10hipError_tPvRmT1_T2_T3_mT4_P12ihipStream_tbEUlT_E0_NS1_11comp_targetILNS1_3genE5ELNS1_11target_archE942ELNS1_3gpuE9ELNS1_3repE0EEENS1_30default_config_static_selectorELNS0_4arch9wavefront6targetE0EEEvSY_,comdat
	.protected	_ZN7rocprim17ROCPRIM_400000_NS6detail17trampoline_kernelINS0_14default_configENS1_22reduce_config_selectorIN6thrust23THRUST_200600_302600_NS5tupleIbffNS6_9null_typeES8_S8_S8_S8_S8_S8_EEEEZNS1_11reduce_implILb1ES3_NS6_11hip_rocprim26transform_input_iterator_tIS9_NS6_12zip_iteratorINS7_INS6_17counting_iteratorIiNS6_11use_defaultESG_SG_EENS6_6detail15normal_iteratorINS6_10device_ptrIfEEEES8_S8_S8_S8_S8_S8_S8_S8_EEEE15transform_tupleIifEEEPS9_S9_12reduce_tupleIifEEE10hipError_tPvRmT1_T2_T3_mT4_P12ihipStream_tbEUlT_E0_NS1_11comp_targetILNS1_3genE5ELNS1_11target_archE942ELNS1_3gpuE9ELNS1_3repE0EEENS1_30default_config_static_selectorELNS0_4arch9wavefront6targetE0EEEvSY_ ; -- Begin function _ZN7rocprim17ROCPRIM_400000_NS6detail17trampoline_kernelINS0_14default_configENS1_22reduce_config_selectorIN6thrust23THRUST_200600_302600_NS5tupleIbffNS6_9null_typeES8_S8_S8_S8_S8_S8_EEEEZNS1_11reduce_implILb1ES3_NS6_11hip_rocprim26transform_input_iterator_tIS9_NS6_12zip_iteratorINS7_INS6_17counting_iteratorIiNS6_11use_defaultESG_SG_EENS6_6detail15normal_iteratorINS6_10device_ptrIfEEEES8_S8_S8_S8_S8_S8_S8_S8_EEEE15transform_tupleIifEEEPS9_S9_12reduce_tupleIifEEE10hipError_tPvRmT1_T2_T3_mT4_P12ihipStream_tbEUlT_E0_NS1_11comp_targetILNS1_3genE5ELNS1_11target_archE942ELNS1_3gpuE9ELNS1_3repE0EEENS1_30default_config_static_selectorELNS0_4arch9wavefront6targetE0EEEvSY_
	.globl	_ZN7rocprim17ROCPRIM_400000_NS6detail17trampoline_kernelINS0_14default_configENS1_22reduce_config_selectorIN6thrust23THRUST_200600_302600_NS5tupleIbffNS6_9null_typeES8_S8_S8_S8_S8_S8_EEEEZNS1_11reduce_implILb1ES3_NS6_11hip_rocprim26transform_input_iterator_tIS9_NS6_12zip_iteratorINS7_INS6_17counting_iteratorIiNS6_11use_defaultESG_SG_EENS6_6detail15normal_iteratorINS6_10device_ptrIfEEEES8_S8_S8_S8_S8_S8_S8_S8_EEEE15transform_tupleIifEEEPS9_S9_12reduce_tupleIifEEE10hipError_tPvRmT1_T2_T3_mT4_P12ihipStream_tbEUlT_E0_NS1_11comp_targetILNS1_3genE5ELNS1_11target_archE942ELNS1_3gpuE9ELNS1_3repE0EEENS1_30default_config_static_selectorELNS0_4arch9wavefront6targetE0EEEvSY_
	.p2align	8
	.type	_ZN7rocprim17ROCPRIM_400000_NS6detail17trampoline_kernelINS0_14default_configENS1_22reduce_config_selectorIN6thrust23THRUST_200600_302600_NS5tupleIbffNS6_9null_typeES8_S8_S8_S8_S8_S8_EEEEZNS1_11reduce_implILb1ES3_NS6_11hip_rocprim26transform_input_iterator_tIS9_NS6_12zip_iteratorINS7_INS6_17counting_iteratorIiNS6_11use_defaultESG_SG_EENS6_6detail15normal_iteratorINS6_10device_ptrIfEEEES8_S8_S8_S8_S8_S8_S8_S8_EEEE15transform_tupleIifEEEPS9_S9_12reduce_tupleIifEEE10hipError_tPvRmT1_T2_T3_mT4_P12ihipStream_tbEUlT_E0_NS1_11comp_targetILNS1_3genE5ELNS1_11target_archE942ELNS1_3gpuE9ELNS1_3repE0EEENS1_30default_config_static_selectorELNS0_4arch9wavefront6targetE0EEEvSY_,@function
_ZN7rocprim17ROCPRIM_400000_NS6detail17trampoline_kernelINS0_14default_configENS1_22reduce_config_selectorIN6thrust23THRUST_200600_302600_NS5tupleIbffNS6_9null_typeES8_S8_S8_S8_S8_S8_EEEEZNS1_11reduce_implILb1ES3_NS6_11hip_rocprim26transform_input_iterator_tIS9_NS6_12zip_iteratorINS7_INS6_17counting_iteratorIiNS6_11use_defaultESG_SG_EENS6_6detail15normal_iteratorINS6_10device_ptrIfEEEES8_S8_S8_S8_S8_S8_S8_S8_EEEE15transform_tupleIifEEEPS9_S9_12reduce_tupleIifEEE10hipError_tPvRmT1_T2_T3_mT4_P12ihipStream_tbEUlT_E0_NS1_11comp_targetILNS1_3genE5ELNS1_11target_archE942ELNS1_3gpuE9ELNS1_3repE0EEENS1_30default_config_static_selectorELNS0_4arch9wavefront6targetE0EEEvSY_: ; @_ZN7rocprim17ROCPRIM_400000_NS6detail17trampoline_kernelINS0_14default_configENS1_22reduce_config_selectorIN6thrust23THRUST_200600_302600_NS5tupleIbffNS6_9null_typeES8_S8_S8_S8_S8_S8_EEEEZNS1_11reduce_implILb1ES3_NS6_11hip_rocprim26transform_input_iterator_tIS9_NS6_12zip_iteratorINS7_INS6_17counting_iteratorIiNS6_11use_defaultESG_SG_EENS6_6detail15normal_iteratorINS6_10device_ptrIfEEEES8_S8_S8_S8_S8_S8_S8_S8_EEEE15transform_tupleIifEEEPS9_S9_12reduce_tupleIifEEE10hipError_tPvRmT1_T2_T3_mT4_P12ihipStream_tbEUlT_E0_NS1_11comp_targetILNS1_3genE5ELNS1_11target_archE942ELNS1_3gpuE9ELNS1_3repE0EEENS1_30default_config_static_selectorELNS0_4arch9wavefront6targetE0EEEvSY_
; %bb.0:
	.section	.rodata,"a",@progbits
	.p2align	6, 0x0
	.amdhsa_kernel _ZN7rocprim17ROCPRIM_400000_NS6detail17trampoline_kernelINS0_14default_configENS1_22reduce_config_selectorIN6thrust23THRUST_200600_302600_NS5tupleIbffNS6_9null_typeES8_S8_S8_S8_S8_S8_EEEEZNS1_11reduce_implILb1ES3_NS6_11hip_rocprim26transform_input_iterator_tIS9_NS6_12zip_iteratorINS7_INS6_17counting_iteratorIiNS6_11use_defaultESG_SG_EENS6_6detail15normal_iteratorINS6_10device_ptrIfEEEES8_S8_S8_S8_S8_S8_S8_S8_EEEE15transform_tupleIifEEEPS9_S9_12reduce_tupleIifEEE10hipError_tPvRmT1_T2_T3_mT4_P12ihipStream_tbEUlT_E0_NS1_11comp_targetILNS1_3genE5ELNS1_11target_archE942ELNS1_3gpuE9ELNS1_3repE0EEENS1_30default_config_static_selectorELNS0_4arch9wavefront6targetE0EEEvSY_
		.amdhsa_group_segment_fixed_size 0
		.amdhsa_private_segment_fixed_size 0
		.amdhsa_kernarg_size 80
		.amdhsa_user_sgpr_count 2
		.amdhsa_user_sgpr_dispatch_ptr 0
		.amdhsa_user_sgpr_queue_ptr 0
		.amdhsa_user_sgpr_kernarg_segment_ptr 1
		.amdhsa_user_sgpr_dispatch_id 0
		.amdhsa_user_sgpr_kernarg_preload_length 0
		.amdhsa_user_sgpr_kernarg_preload_offset 0
		.amdhsa_user_sgpr_private_segment_size 0
		.amdhsa_wavefront_size32 1
		.amdhsa_uses_dynamic_stack 0
		.amdhsa_enable_private_segment 0
		.amdhsa_system_sgpr_workgroup_id_x 1
		.amdhsa_system_sgpr_workgroup_id_y 0
		.amdhsa_system_sgpr_workgroup_id_z 0
		.amdhsa_system_sgpr_workgroup_info 0
		.amdhsa_system_vgpr_workitem_id 0
		.amdhsa_next_free_vgpr 1
		.amdhsa_next_free_sgpr 1
		.amdhsa_named_barrier_count 0
		.amdhsa_reserve_vcc 0
		.amdhsa_float_round_mode_32 0
		.amdhsa_float_round_mode_16_64 0
		.amdhsa_float_denorm_mode_32 3
		.amdhsa_float_denorm_mode_16_64 3
		.amdhsa_fp16_overflow 0
		.amdhsa_memory_ordered 1
		.amdhsa_forward_progress 1
		.amdhsa_inst_pref_size 0
		.amdhsa_round_robin_scheduling 0
		.amdhsa_exception_fp_ieee_invalid_op 0
		.amdhsa_exception_fp_denorm_src 0
		.amdhsa_exception_fp_ieee_div_zero 0
		.amdhsa_exception_fp_ieee_overflow 0
		.amdhsa_exception_fp_ieee_underflow 0
		.amdhsa_exception_fp_ieee_inexact 0
		.amdhsa_exception_int_div_zero 0
	.end_amdhsa_kernel
	.section	.text._ZN7rocprim17ROCPRIM_400000_NS6detail17trampoline_kernelINS0_14default_configENS1_22reduce_config_selectorIN6thrust23THRUST_200600_302600_NS5tupleIbffNS6_9null_typeES8_S8_S8_S8_S8_S8_EEEEZNS1_11reduce_implILb1ES3_NS6_11hip_rocprim26transform_input_iterator_tIS9_NS6_12zip_iteratorINS7_INS6_17counting_iteratorIiNS6_11use_defaultESG_SG_EENS6_6detail15normal_iteratorINS6_10device_ptrIfEEEES8_S8_S8_S8_S8_S8_S8_S8_EEEE15transform_tupleIifEEEPS9_S9_12reduce_tupleIifEEE10hipError_tPvRmT1_T2_T3_mT4_P12ihipStream_tbEUlT_E0_NS1_11comp_targetILNS1_3genE5ELNS1_11target_archE942ELNS1_3gpuE9ELNS1_3repE0EEENS1_30default_config_static_selectorELNS0_4arch9wavefront6targetE0EEEvSY_,"axG",@progbits,_ZN7rocprim17ROCPRIM_400000_NS6detail17trampoline_kernelINS0_14default_configENS1_22reduce_config_selectorIN6thrust23THRUST_200600_302600_NS5tupleIbffNS6_9null_typeES8_S8_S8_S8_S8_S8_EEEEZNS1_11reduce_implILb1ES3_NS6_11hip_rocprim26transform_input_iterator_tIS9_NS6_12zip_iteratorINS7_INS6_17counting_iteratorIiNS6_11use_defaultESG_SG_EENS6_6detail15normal_iteratorINS6_10device_ptrIfEEEES8_S8_S8_S8_S8_S8_S8_S8_EEEE15transform_tupleIifEEEPS9_S9_12reduce_tupleIifEEE10hipError_tPvRmT1_T2_T3_mT4_P12ihipStream_tbEUlT_E0_NS1_11comp_targetILNS1_3genE5ELNS1_11target_archE942ELNS1_3gpuE9ELNS1_3repE0EEENS1_30default_config_static_selectorELNS0_4arch9wavefront6targetE0EEEvSY_,comdat
.Lfunc_end20:
	.size	_ZN7rocprim17ROCPRIM_400000_NS6detail17trampoline_kernelINS0_14default_configENS1_22reduce_config_selectorIN6thrust23THRUST_200600_302600_NS5tupleIbffNS6_9null_typeES8_S8_S8_S8_S8_S8_EEEEZNS1_11reduce_implILb1ES3_NS6_11hip_rocprim26transform_input_iterator_tIS9_NS6_12zip_iteratorINS7_INS6_17counting_iteratorIiNS6_11use_defaultESG_SG_EENS6_6detail15normal_iteratorINS6_10device_ptrIfEEEES8_S8_S8_S8_S8_S8_S8_S8_EEEE15transform_tupleIifEEEPS9_S9_12reduce_tupleIifEEE10hipError_tPvRmT1_T2_T3_mT4_P12ihipStream_tbEUlT_E0_NS1_11comp_targetILNS1_3genE5ELNS1_11target_archE942ELNS1_3gpuE9ELNS1_3repE0EEENS1_30default_config_static_selectorELNS0_4arch9wavefront6targetE0EEEvSY_, .Lfunc_end20-_ZN7rocprim17ROCPRIM_400000_NS6detail17trampoline_kernelINS0_14default_configENS1_22reduce_config_selectorIN6thrust23THRUST_200600_302600_NS5tupleIbffNS6_9null_typeES8_S8_S8_S8_S8_S8_EEEEZNS1_11reduce_implILb1ES3_NS6_11hip_rocprim26transform_input_iterator_tIS9_NS6_12zip_iteratorINS7_INS6_17counting_iteratorIiNS6_11use_defaultESG_SG_EENS6_6detail15normal_iteratorINS6_10device_ptrIfEEEES8_S8_S8_S8_S8_S8_S8_S8_EEEE15transform_tupleIifEEEPS9_S9_12reduce_tupleIifEEE10hipError_tPvRmT1_T2_T3_mT4_P12ihipStream_tbEUlT_E0_NS1_11comp_targetILNS1_3genE5ELNS1_11target_archE942ELNS1_3gpuE9ELNS1_3repE0EEENS1_30default_config_static_selectorELNS0_4arch9wavefront6targetE0EEEvSY_
                                        ; -- End function
	.set _ZN7rocprim17ROCPRIM_400000_NS6detail17trampoline_kernelINS0_14default_configENS1_22reduce_config_selectorIN6thrust23THRUST_200600_302600_NS5tupleIbffNS6_9null_typeES8_S8_S8_S8_S8_S8_EEEEZNS1_11reduce_implILb1ES3_NS6_11hip_rocprim26transform_input_iterator_tIS9_NS6_12zip_iteratorINS7_INS6_17counting_iteratorIiNS6_11use_defaultESG_SG_EENS6_6detail15normal_iteratorINS6_10device_ptrIfEEEES8_S8_S8_S8_S8_S8_S8_S8_EEEE15transform_tupleIifEEEPS9_S9_12reduce_tupleIifEEE10hipError_tPvRmT1_T2_T3_mT4_P12ihipStream_tbEUlT_E0_NS1_11comp_targetILNS1_3genE5ELNS1_11target_archE942ELNS1_3gpuE9ELNS1_3repE0EEENS1_30default_config_static_selectorELNS0_4arch9wavefront6targetE0EEEvSY_.num_vgpr, 0
	.set _ZN7rocprim17ROCPRIM_400000_NS6detail17trampoline_kernelINS0_14default_configENS1_22reduce_config_selectorIN6thrust23THRUST_200600_302600_NS5tupleIbffNS6_9null_typeES8_S8_S8_S8_S8_S8_EEEEZNS1_11reduce_implILb1ES3_NS6_11hip_rocprim26transform_input_iterator_tIS9_NS6_12zip_iteratorINS7_INS6_17counting_iteratorIiNS6_11use_defaultESG_SG_EENS6_6detail15normal_iteratorINS6_10device_ptrIfEEEES8_S8_S8_S8_S8_S8_S8_S8_EEEE15transform_tupleIifEEEPS9_S9_12reduce_tupleIifEEE10hipError_tPvRmT1_T2_T3_mT4_P12ihipStream_tbEUlT_E0_NS1_11comp_targetILNS1_3genE5ELNS1_11target_archE942ELNS1_3gpuE9ELNS1_3repE0EEENS1_30default_config_static_selectorELNS0_4arch9wavefront6targetE0EEEvSY_.num_agpr, 0
	.set _ZN7rocprim17ROCPRIM_400000_NS6detail17trampoline_kernelINS0_14default_configENS1_22reduce_config_selectorIN6thrust23THRUST_200600_302600_NS5tupleIbffNS6_9null_typeES8_S8_S8_S8_S8_S8_EEEEZNS1_11reduce_implILb1ES3_NS6_11hip_rocprim26transform_input_iterator_tIS9_NS6_12zip_iteratorINS7_INS6_17counting_iteratorIiNS6_11use_defaultESG_SG_EENS6_6detail15normal_iteratorINS6_10device_ptrIfEEEES8_S8_S8_S8_S8_S8_S8_S8_EEEE15transform_tupleIifEEEPS9_S9_12reduce_tupleIifEEE10hipError_tPvRmT1_T2_T3_mT4_P12ihipStream_tbEUlT_E0_NS1_11comp_targetILNS1_3genE5ELNS1_11target_archE942ELNS1_3gpuE9ELNS1_3repE0EEENS1_30default_config_static_selectorELNS0_4arch9wavefront6targetE0EEEvSY_.numbered_sgpr, 0
	.set _ZN7rocprim17ROCPRIM_400000_NS6detail17trampoline_kernelINS0_14default_configENS1_22reduce_config_selectorIN6thrust23THRUST_200600_302600_NS5tupleIbffNS6_9null_typeES8_S8_S8_S8_S8_S8_EEEEZNS1_11reduce_implILb1ES3_NS6_11hip_rocprim26transform_input_iterator_tIS9_NS6_12zip_iteratorINS7_INS6_17counting_iteratorIiNS6_11use_defaultESG_SG_EENS6_6detail15normal_iteratorINS6_10device_ptrIfEEEES8_S8_S8_S8_S8_S8_S8_S8_EEEE15transform_tupleIifEEEPS9_S9_12reduce_tupleIifEEE10hipError_tPvRmT1_T2_T3_mT4_P12ihipStream_tbEUlT_E0_NS1_11comp_targetILNS1_3genE5ELNS1_11target_archE942ELNS1_3gpuE9ELNS1_3repE0EEENS1_30default_config_static_selectorELNS0_4arch9wavefront6targetE0EEEvSY_.num_named_barrier, 0
	.set _ZN7rocprim17ROCPRIM_400000_NS6detail17trampoline_kernelINS0_14default_configENS1_22reduce_config_selectorIN6thrust23THRUST_200600_302600_NS5tupleIbffNS6_9null_typeES8_S8_S8_S8_S8_S8_EEEEZNS1_11reduce_implILb1ES3_NS6_11hip_rocprim26transform_input_iterator_tIS9_NS6_12zip_iteratorINS7_INS6_17counting_iteratorIiNS6_11use_defaultESG_SG_EENS6_6detail15normal_iteratorINS6_10device_ptrIfEEEES8_S8_S8_S8_S8_S8_S8_S8_EEEE15transform_tupleIifEEEPS9_S9_12reduce_tupleIifEEE10hipError_tPvRmT1_T2_T3_mT4_P12ihipStream_tbEUlT_E0_NS1_11comp_targetILNS1_3genE5ELNS1_11target_archE942ELNS1_3gpuE9ELNS1_3repE0EEENS1_30default_config_static_selectorELNS0_4arch9wavefront6targetE0EEEvSY_.private_seg_size, 0
	.set _ZN7rocprim17ROCPRIM_400000_NS6detail17trampoline_kernelINS0_14default_configENS1_22reduce_config_selectorIN6thrust23THRUST_200600_302600_NS5tupleIbffNS6_9null_typeES8_S8_S8_S8_S8_S8_EEEEZNS1_11reduce_implILb1ES3_NS6_11hip_rocprim26transform_input_iterator_tIS9_NS6_12zip_iteratorINS7_INS6_17counting_iteratorIiNS6_11use_defaultESG_SG_EENS6_6detail15normal_iteratorINS6_10device_ptrIfEEEES8_S8_S8_S8_S8_S8_S8_S8_EEEE15transform_tupleIifEEEPS9_S9_12reduce_tupleIifEEE10hipError_tPvRmT1_T2_T3_mT4_P12ihipStream_tbEUlT_E0_NS1_11comp_targetILNS1_3genE5ELNS1_11target_archE942ELNS1_3gpuE9ELNS1_3repE0EEENS1_30default_config_static_selectorELNS0_4arch9wavefront6targetE0EEEvSY_.uses_vcc, 0
	.set _ZN7rocprim17ROCPRIM_400000_NS6detail17trampoline_kernelINS0_14default_configENS1_22reduce_config_selectorIN6thrust23THRUST_200600_302600_NS5tupleIbffNS6_9null_typeES8_S8_S8_S8_S8_S8_EEEEZNS1_11reduce_implILb1ES3_NS6_11hip_rocprim26transform_input_iterator_tIS9_NS6_12zip_iteratorINS7_INS6_17counting_iteratorIiNS6_11use_defaultESG_SG_EENS6_6detail15normal_iteratorINS6_10device_ptrIfEEEES8_S8_S8_S8_S8_S8_S8_S8_EEEE15transform_tupleIifEEEPS9_S9_12reduce_tupleIifEEE10hipError_tPvRmT1_T2_T3_mT4_P12ihipStream_tbEUlT_E0_NS1_11comp_targetILNS1_3genE5ELNS1_11target_archE942ELNS1_3gpuE9ELNS1_3repE0EEENS1_30default_config_static_selectorELNS0_4arch9wavefront6targetE0EEEvSY_.uses_flat_scratch, 0
	.set _ZN7rocprim17ROCPRIM_400000_NS6detail17trampoline_kernelINS0_14default_configENS1_22reduce_config_selectorIN6thrust23THRUST_200600_302600_NS5tupleIbffNS6_9null_typeES8_S8_S8_S8_S8_S8_EEEEZNS1_11reduce_implILb1ES3_NS6_11hip_rocprim26transform_input_iterator_tIS9_NS6_12zip_iteratorINS7_INS6_17counting_iteratorIiNS6_11use_defaultESG_SG_EENS6_6detail15normal_iteratorINS6_10device_ptrIfEEEES8_S8_S8_S8_S8_S8_S8_S8_EEEE15transform_tupleIifEEEPS9_S9_12reduce_tupleIifEEE10hipError_tPvRmT1_T2_T3_mT4_P12ihipStream_tbEUlT_E0_NS1_11comp_targetILNS1_3genE5ELNS1_11target_archE942ELNS1_3gpuE9ELNS1_3repE0EEENS1_30default_config_static_selectorELNS0_4arch9wavefront6targetE0EEEvSY_.has_dyn_sized_stack, 0
	.set _ZN7rocprim17ROCPRIM_400000_NS6detail17trampoline_kernelINS0_14default_configENS1_22reduce_config_selectorIN6thrust23THRUST_200600_302600_NS5tupleIbffNS6_9null_typeES8_S8_S8_S8_S8_S8_EEEEZNS1_11reduce_implILb1ES3_NS6_11hip_rocprim26transform_input_iterator_tIS9_NS6_12zip_iteratorINS7_INS6_17counting_iteratorIiNS6_11use_defaultESG_SG_EENS6_6detail15normal_iteratorINS6_10device_ptrIfEEEES8_S8_S8_S8_S8_S8_S8_S8_EEEE15transform_tupleIifEEEPS9_S9_12reduce_tupleIifEEE10hipError_tPvRmT1_T2_T3_mT4_P12ihipStream_tbEUlT_E0_NS1_11comp_targetILNS1_3genE5ELNS1_11target_archE942ELNS1_3gpuE9ELNS1_3repE0EEENS1_30default_config_static_selectorELNS0_4arch9wavefront6targetE0EEEvSY_.has_recursion, 0
	.set _ZN7rocprim17ROCPRIM_400000_NS6detail17trampoline_kernelINS0_14default_configENS1_22reduce_config_selectorIN6thrust23THRUST_200600_302600_NS5tupleIbffNS6_9null_typeES8_S8_S8_S8_S8_S8_EEEEZNS1_11reduce_implILb1ES3_NS6_11hip_rocprim26transform_input_iterator_tIS9_NS6_12zip_iteratorINS7_INS6_17counting_iteratorIiNS6_11use_defaultESG_SG_EENS6_6detail15normal_iteratorINS6_10device_ptrIfEEEES8_S8_S8_S8_S8_S8_S8_S8_EEEE15transform_tupleIifEEEPS9_S9_12reduce_tupleIifEEE10hipError_tPvRmT1_T2_T3_mT4_P12ihipStream_tbEUlT_E0_NS1_11comp_targetILNS1_3genE5ELNS1_11target_archE942ELNS1_3gpuE9ELNS1_3repE0EEENS1_30default_config_static_selectorELNS0_4arch9wavefront6targetE0EEEvSY_.has_indirect_call, 0
	.section	.AMDGPU.csdata,"",@progbits
; Kernel info:
; codeLenInByte = 0
; TotalNumSgprs: 0
; NumVgprs: 0
; ScratchSize: 0
; MemoryBound: 0
; FloatMode: 240
; IeeeMode: 1
; LDSByteSize: 0 bytes/workgroup (compile time only)
; SGPRBlocks: 0
; VGPRBlocks: 0
; NumSGPRsForWavesPerEU: 1
; NumVGPRsForWavesPerEU: 1
; NamedBarCnt: 0
; Occupancy: 16
; WaveLimiterHint : 0
; COMPUTE_PGM_RSRC2:SCRATCH_EN: 0
; COMPUTE_PGM_RSRC2:USER_SGPR: 2
; COMPUTE_PGM_RSRC2:TRAP_HANDLER: 0
; COMPUTE_PGM_RSRC2:TGID_X_EN: 1
; COMPUTE_PGM_RSRC2:TGID_Y_EN: 0
; COMPUTE_PGM_RSRC2:TGID_Z_EN: 0
; COMPUTE_PGM_RSRC2:TIDIG_COMP_CNT: 0
	.section	.text._ZN7rocprim17ROCPRIM_400000_NS6detail17trampoline_kernelINS0_14default_configENS1_22reduce_config_selectorIN6thrust23THRUST_200600_302600_NS5tupleIbffNS6_9null_typeES8_S8_S8_S8_S8_S8_EEEEZNS1_11reduce_implILb1ES3_NS6_11hip_rocprim26transform_input_iterator_tIS9_NS6_12zip_iteratorINS7_INS6_17counting_iteratorIiNS6_11use_defaultESG_SG_EENS6_6detail15normal_iteratorINS6_10device_ptrIfEEEES8_S8_S8_S8_S8_S8_S8_S8_EEEE15transform_tupleIifEEEPS9_S9_12reduce_tupleIifEEE10hipError_tPvRmT1_T2_T3_mT4_P12ihipStream_tbEUlT_E0_NS1_11comp_targetILNS1_3genE4ELNS1_11target_archE910ELNS1_3gpuE8ELNS1_3repE0EEENS1_30default_config_static_selectorELNS0_4arch9wavefront6targetE0EEEvSY_,"axG",@progbits,_ZN7rocprim17ROCPRIM_400000_NS6detail17trampoline_kernelINS0_14default_configENS1_22reduce_config_selectorIN6thrust23THRUST_200600_302600_NS5tupleIbffNS6_9null_typeES8_S8_S8_S8_S8_S8_EEEEZNS1_11reduce_implILb1ES3_NS6_11hip_rocprim26transform_input_iterator_tIS9_NS6_12zip_iteratorINS7_INS6_17counting_iteratorIiNS6_11use_defaultESG_SG_EENS6_6detail15normal_iteratorINS6_10device_ptrIfEEEES8_S8_S8_S8_S8_S8_S8_S8_EEEE15transform_tupleIifEEEPS9_S9_12reduce_tupleIifEEE10hipError_tPvRmT1_T2_T3_mT4_P12ihipStream_tbEUlT_E0_NS1_11comp_targetILNS1_3genE4ELNS1_11target_archE910ELNS1_3gpuE8ELNS1_3repE0EEENS1_30default_config_static_selectorELNS0_4arch9wavefront6targetE0EEEvSY_,comdat
	.protected	_ZN7rocprim17ROCPRIM_400000_NS6detail17trampoline_kernelINS0_14default_configENS1_22reduce_config_selectorIN6thrust23THRUST_200600_302600_NS5tupleIbffNS6_9null_typeES8_S8_S8_S8_S8_S8_EEEEZNS1_11reduce_implILb1ES3_NS6_11hip_rocprim26transform_input_iterator_tIS9_NS6_12zip_iteratorINS7_INS6_17counting_iteratorIiNS6_11use_defaultESG_SG_EENS6_6detail15normal_iteratorINS6_10device_ptrIfEEEES8_S8_S8_S8_S8_S8_S8_S8_EEEE15transform_tupleIifEEEPS9_S9_12reduce_tupleIifEEE10hipError_tPvRmT1_T2_T3_mT4_P12ihipStream_tbEUlT_E0_NS1_11comp_targetILNS1_3genE4ELNS1_11target_archE910ELNS1_3gpuE8ELNS1_3repE0EEENS1_30default_config_static_selectorELNS0_4arch9wavefront6targetE0EEEvSY_ ; -- Begin function _ZN7rocprim17ROCPRIM_400000_NS6detail17trampoline_kernelINS0_14default_configENS1_22reduce_config_selectorIN6thrust23THRUST_200600_302600_NS5tupleIbffNS6_9null_typeES8_S8_S8_S8_S8_S8_EEEEZNS1_11reduce_implILb1ES3_NS6_11hip_rocprim26transform_input_iterator_tIS9_NS6_12zip_iteratorINS7_INS6_17counting_iteratorIiNS6_11use_defaultESG_SG_EENS6_6detail15normal_iteratorINS6_10device_ptrIfEEEES8_S8_S8_S8_S8_S8_S8_S8_EEEE15transform_tupleIifEEEPS9_S9_12reduce_tupleIifEEE10hipError_tPvRmT1_T2_T3_mT4_P12ihipStream_tbEUlT_E0_NS1_11comp_targetILNS1_3genE4ELNS1_11target_archE910ELNS1_3gpuE8ELNS1_3repE0EEENS1_30default_config_static_selectorELNS0_4arch9wavefront6targetE0EEEvSY_
	.globl	_ZN7rocprim17ROCPRIM_400000_NS6detail17trampoline_kernelINS0_14default_configENS1_22reduce_config_selectorIN6thrust23THRUST_200600_302600_NS5tupleIbffNS6_9null_typeES8_S8_S8_S8_S8_S8_EEEEZNS1_11reduce_implILb1ES3_NS6_11hip_rocprim26transform_input_iterator_tIS9_NS6_12zip_iteratorINS7_INS6_17counting_iteratorIiNS6_11use_defaultESG_SG_EENS6_6detail15normal_iteratorINS6_10device_ptrIfEEEES8_S8_S8_S8_S8_S8_S8_S8_EEEE15transform_tupleIifEEEPS9_S9_12reduce_tupleIifEEE10hipError_tPvRmT1_T2_T3_mT4_P12ihipStream_tbEUlT_E0_NS1_11comp_targetILNS1_3genE4ELNS1_11target_archE910ELNS1_3gpuE8ELNS1_3repE0EEENS1_30default_config_static_selectorELNS0_4arch9wavefront6targetE0EEEvSY_
	.p2align	8
	.type	_ZN7rocprim17ROCPRIM_400000_NS6detail17trampoline_kernelINS0_14default_configENS1_22reduce_config_selectorIN6thrust23THRUST_200600_302600_NS5tupleIbffNS6_9null_typeES8_S8_S8_S8_S8_S8_EEEEZNS1_11reduce_implILb1ES3_NS6_11hip_rocprim26transform_input_iterator_tIS9_NS6_12zip_iteratorINS7_INS6_17counting_iteratorIiNS6_11use_defaultESG_SG_EENS6_6detail15normal_iteratorINS6_10device_ptrIfEEEES8_S8_S8_S8_S8_S8_S8_S8_EEEE15transform_tupleIifEEEPS9_S9_12reduce_tupleIifEEE10hipError_tPvRmT1_T2_T3_mT4_P12ihipStream_tbEUlT_E0_NS1_11comp_targetILNS1_3genE4ELNS1_11target_archE910ELNS1_3gpuE8ELNS1_3repE0EEENS1_30default_config_static_selectorELNS0_4arch9wavefront6targetE0EEEvSY_,@function
_ZN7rocprim17ROCPRIM_400000_NS6detail17trampoline_kernelINS0_14default_configENS1_22reduce_config_selectorIN6thrust23THRUST_200600_302600_NS5tupleIbffNS6_9null_typeES8_S8_S8_S8_S8_S8_EEEEZNS1_11reduce_implILb1ES3_NS6_11hip_rocprim26transform_input_iterator_tIS9_NS6_12zip_iteratorINS7_INS6_17counting_iteratorIiNS6_11use_defaultESG_SG_EENS6_6detail15normal_iteratorINS6_10device_ptrIfEEEES8_S8_S8_S8_S8_S8_S8_S8_EEEE15transform_tupleIifEEEPS9_S9_12reduce_tupleIifEEE10hipError_tPvRmT1_T2_T3_mT4_P12ihipStream_tbEUlT_E0_NS1_11comp_targetILNS1_3genE4ELNS1_11target_archE910ELNS1_3gpuE8ELNS1_3repE0EEENS1_30default_config_static_selectorELNS0_4arch9wavefront6targetE0EEEvSY_: ; @_ZN7rocprim17ROCPRIM_400000_NS6detail17trampoline_kernelINS0_14default_configENS1_22reduce_config_selectorIN6thrust23THRUST_200600_302600_NS5tupleIbffNS6_9null_typeES8_S8_S8_S8_S8_S8_EEEEZNS1_11reduce_implILb1ES3_NS6_11hip_rocprim26transform_input_iterator_tIS9_NS6_12zip_iteratorINS7_INS6_17counting_iteratorIiNS6_11use_defaultESG_SG_EENS6_6detail15normal_iteratorINS6_10device_ptrIfEEEES8_S8_S8_S8_S8_S8_S8_S8_EEEE15transform_tupleIifEEEPS9_S9_12reduce_tupleIifEEE10hipError_tPvRmT1_T2_T3_mT4_P12ihipStream_tbEUlT_E0_NS1_11comp_targetILNS1_3genE4ELNS1_11target_archE910ELNS1_3gpuE8ELNS1_3repE0EEENS1_30default_config_static_selectorELNS0_4arch9wavefront6targetE0EEEvSY_
; %bb.0:
	.section	.rodata,"a",@progbits
	.p2align	6, 0x0
	.amdhsa_kernel _ZN7rocprim17ROCPRIM_400000_NS6detail17trampoline_kernelINS0_14default_configENS1_22reduce_config_selectorIN6thrust23THRUST_200600_302600_NS5tupleIbffNS6_9null_typeES8_S8_S8_S8_S8_S8_EEEEZNS1_11reduce_implILb1ES3_NS6_11hip_rocprim26transform_input_iterator_tIS9_NS6_12zip_iteratorINS7_INS6_17counting_iteratorIiNS6_11use_defaultESG_SG_EENS6_6detail15normal_iteratorINS6_10device_ptrIfEEEES8_S8_S8_S8_S8_S8_S8_S8_EEEE15transform_tupleIifEEEPS9_S9_12reduce_tupleIifEEE10hipError_tPvRmT1_T2_T3_mT4_P12ihipStream_tbEUlT_E0_NS1_11comp_targetILNS1_3genE4ELNS1_11target_archE910ELNS1_3gpuE8ELNS1_3repE0EEENS1_30default_config_static_selectorELNS0_4arch9wavefront6targetE0EEEvSY_
		.amdhsa_group_segment_fixed_size 0
		.amdhsa_private_segment_fixed_size 0
		.amdhsa_kernarg_size 80
		.amdhsa_user_sgpr_count 2
		.amdhsa_user_sgpr_dispatch_ptr 0
		.amdhsa_user_sgpr_queue_ptr 0
		.amdhsa_user_sgpr_kernarg_segment_ptr 1
		.amdhsa_user_sgpr_dispatch_id 0
		.amdhsa_user_sgpr_kernarg_preload_length 0
		.amdhsa_user_sgpr_kernarg_preload_offset 0
		.amdhsa_user_sgpr_private_segment_size 0
		.amdhsa_wavefront_size32 1
		.amdhsa_uses_dynamic_stack 0
		.amdhsa_enable_private_segment 0
		.amdhsa_system_sgpr_workgroup_id_x 1
		.amdhsa_system_sgpr_workgroup_id_y 0
		.amdhsa_system_sgpr_workgroup_id_z 0
		.amdhsa_system_sgpr_workgroup_info 0
		.amdhsa_system_vgpr_workitem_id 0
		.amdhsa_next_free_vgpr 1
		.amdhsa_next_free_sgpr 1
		.amdhsa_named_barrier_count 0
		.amdhsa_reserve_vcc 0
		.amdhsa_float_round_mode_32 0
		.amdhsa_float_round_mode_16_64 0
		.amdhsa_float_denorm_mode_32 3
		.amdhsa_float_denorm_mode_16_64 3
		.amdhsa_fp16_overflow 0
		.amdhsa_memory_ordered 1
		.amdhsa_forward_progress 1
		.amdhsa_inst_pref_size 0
		.amdhsa_round_robin_scheduling 0
		.amdhsa_exception_fp_ieee_invalid_op 0
		.amdhsa_exception_fp_denorm_src 0
		.amdhsa_exception_fp_ieee_div_zero 0
		.amdhsa_exception_fp_ieee_overflow 0
		.amdhsa_exception_fp_ieee_underflow 0
		.amdhsa_exception_fp_ieee_inexact 0
		.amdhsa_exception_int_div_zero 0
	.end_amdhsa_kernel
	.section	.text._ZN7rocprim17ROCPRIM_400000_NS6detail17trampoline_kernelINS0_14default_configENS1_22reduce_config_selectorIN6thrust23THRUST_200600_302600_NS5tupleIbffNS6_9null_typeES8_S8_S8_S8_S8_S8_EEEEZNS1_11reduce_implILb1ES3_NS6_11hip_rocprim26transform_input_iterator_tIS9_NS6_12zip_iteratorINS7_INS6_17counting_iteratorIiNS6_11use_defaultESG_SG_EENS6_6detail15normal_iteratorINS6_10device_ptrIfEEEES8_S8_S8_S8_S8_S8_S8_S8_EEEE15transform_tupleIifEEEPS9_S9_12reduce_tupleIifEEE10hipError_tPvRmT1_T2_T3_mT4_P12ihipStream_tbEUlT_E0_NS1_11comp_targetILNS1_3genE4ELNS1_11target_archE910ELNS1_3gpuE8ELNS1_3repE0EEENS1_30default_config_static_selectorELNS0_4arch9wavefront6targetE0EEEvSY_,"axG",@progbits,_ZN7rocprim17ROCPRIM_400000_NS6detail17trampoline_kernelINS0_14default_configENS1_22reduce_config_selectorIN6thrust23THRUST_200600_302600_NS5tupleIbffNS6_9null_typeES8_S8_S8_S8_S8_S8_EEEEZNS1_11reduce_implILb1ES3_NS6_11hip_rocprim26transform_input_iterator_tIS9_NS6_12zip_iteratorINS7_INS6_17counting_iteratorIiNS6_11use_defaultESG_SG_EENS6_6detail15normal_iteratorINS6_10device_ptrIfEEEES8_S8_S8_S8_S8_S8_S8_S8_EEEE15transform_tupleIifEEEPS9_S9_12reduce_tupleIifEEE10hipError_tPvRmT1_T2_T3_mT4_P12ihipStream_tbEUlT_E0_NS1_11comp_targetILNS1_3genE4ELNS1_11target_archE910ELNS1_3gpuE8ELNS1_3repE0EEENS1_30default_config_static_selectorELNS0_4arch9wavefront6targetE0EEEvSY_,comdat
.Lfunc_end21:
	.size	_ZN7rocprim17ROCPRIM_400000_NS6detail17trampoline_kernelINS0_14default_configENS1_22reduce_config_selectorIN6thrust23THRUST_200600_302600_NS5tupleIbffNS6_9null_typeES8_S8_S8_S8_S8_S8_EEEEZNS1_11reduce_implILb1ES3_NS6_11hip_rocprim26transform_input_iterator_tIS9_NS6_12zip_iteratorINS7_INS6_17counting_iteratorIiNS6_11use_defaultESG_SG_EENS6_6detail15normal_iteratorINS6_10device_ptrIfEEEES8_S8_S8_S8_S8_S8_S8_S8_EEEE15transform_tupleIifEEEPS9_S9_12reduce_tupleIifEEE10hipError_tPvRmT1_T2_T3_mT4_P12ihipStream_tbEUlT_E0_NS1_11comp_targetILNS1_3genE4ELNS1_11target_archE910ELNS1_3gpuE8ELNS1_3repE0EEENS1_30default_config_static_selectorELNS0_4arch9wavefront6targetE0EEEvSY_, .Lfunc_end21-_ZN7rocprim17ROCPRIM_400000_NS6detail17trampoline_kernelINS0_14default_configENS1_22reduce_config_selectorIN6thrust23THRUST_200600_302600_NS5tupleIbffNS6_9null_typeES8_S8_S8_S8_S8_S8_EEEEZNS1_11reduce_implILb1ES3_NS6_11hip_rocprim26transform_input_iterator_tIS9_NS6_12zip_iteratorINS7_INS6_17counting_iteratorIiNS6_11use_defaultESG_SG_EENS6_6detail15normal_iteratorINS6_10device_ptrIfEEEES8_S8_S8_S8_S8_S8_S8_S8_EEEE15transform_tupleIifEEEPS9_S9_12reduce_tupleIifEEE10hipError_tPvRmT1_T2_T3_mT4_P12ihipStream_tbEUlT_E0_NS1_11comp_targetILNS1_3genE4ELNS1_11target_archE910ELNS1_3gpuE8ELNS1_3repE0EEENS1_30default_config_static_selectorELNS0_4arch9wavefront6targetE0EEEvSY_
                                        ; -- End function
	.set _ZN7rocprim17ROCPRIM_400000_NS6detail17trampoline_kernelINS0_14default_configENS1_22reduce_config_selectorIN6thrust23THRUST_200600_302600_NS5tupleIbffNS6_9null_typeES8_S8_S8_S8_S8_S8_EEEEZNS1_11reduce_implILb1ES3_NS6_11hip_rocprim26transform_input_iterator_tIS9_NS6_12zip_iteratorINS7_INS6_17counting_iteratorIiNS6_11use_defaultESG_SG_EENS6_6detail15normal_iteratorINS6_10device_ptrIfEEEES8_S8_S8_S8_S8_S8_S8_S8_EEEE15transform_tupleIifEEEPS9_S9_12reduce_tupleIifEEE10hipError_tPvRmT1_T2_T3_mT4_P12ihipStream_tbEUlT_E0_NS1_11comp_targetILNS1_3genE4ELNS1_11target_archE910ELNS1_3gpuE8ELNS1_3repE0EEENS1_30default_config_static_selectorELNS0_4arch9wavefront6targetE0EEEvSY_.num_vgpr, 0
	.set _ZN7rocprim17ROCPRIM_400000_NS6detail17trampoline_kernelINS0_14default_configENS1_22reduce_config_selectorIN6thrust23THRUST_200600_302600_NS5tupleIbffNS6_9null_typeES8_S8_S8_S8_S8_S8_EEEEZNS1_11reduce_implILb1ES3_NS6_11hip_rocprim26transform_input_iterator_tIS9_NS6_12zip_iteratorINS7_INS6_17counting_iteratorIiNS6_11use_defaultESG_SG_EENS6_6detail15normal_iteratorINS6_10device_ptrIfEEEES8_S8_S8_S8_S8_S8_S8_S8_EEEE15transform_tupleIifEEEPS9_S9_12reduce_tupleIifEEE10hipError_tPvRmT1_T2_T3_mT4_P12ihipStream_tbEUlT_E0_NS1_11comp_targetILNS1_3genE4ELNS1_11target_archE910ELNS1_3gpuE8ELNS1_3repE0EEENS1_30default_config_static_selectorELNS0_4arch9wavefront6targetE0EEEvSY_.num_agpr, 0
	.set _ZN7rocprim17ROCPRIM_400000_NS6detail17trampoline_kernelINS0_14default_configENS1_22reduce_config_selectorIN6thrust23THRUST_200600_302600_NS5tupleIbffNS6_9null_typeES8_S8_S8_S8_S8_S8_EEEEZNS1_11reduce_implILb1ES3_NS6_11hip_rocprim26transform_input_iterator_tIS9_NS6_12zip_iteratorINS7_INS6_17counting_iteratorIiNS6_11use_defaultESG_SG_EENS6_6detail15normal_iteratorINS6_10device_ptrIfEEEES8_S8_S8_S8_S8_S8_S8_S8_EEEE15transform_tupleIifEEEPS9_S9_12reduce_tupleIifEEE10hipError_tPvRmT1_T2_T3_mT4_P12ihipStream_tbEUlT_E0_NS1_11comp_targetILNS1_3genE4ELNS1_11target_archE910ELNS1_3gpuE8ELNS1_3repE0EEENS1_30default_config_static_selectorELNS0_4arch9wavefront6targetE0EEEvSY_.numbered_sgpr, 0
	.set _ZN7rocprim17ROCPRIM_400000_NS6detail17trampoline_kernelINS0_14default_configENS1_22reduce_config_selectorIN6thrust23THRUST_200600_302600_NS5tupleIbffNS6_9null_typeES8_S8_S8_S8_S8_S8_EEEEZNS1_11reduce_implILb1ES3_NS6_11hip_rocprim26transform_input_iterator_tIS9_NS6_12zip_iteratorINS7_INS6_17counting_iteratorIiNS6_11use_defaultESG_SG_EENS6_6detail15normal_iteratorINS6_10device_ptrIfEEEES8_S8_S8_S8_S8_S8_S8_S8_EEEE15transform_tupleIifEEEPS9_S9_12reduce_tupleIifEEE10hipError_tPvRmT1_T2_T3_mT4_P12ihipStream_tbEUlT_E0_NS1_11comp_targetILNS1_3genE4ELNS1_11target_archE910ELNS1_3gpuE8ELNS1_3repE0EEENS1_30default_config_static_selectorELNS0_4arch9wavefront6targetE0EEEvSY_.num_named_barrier, 0
	.set _ZN7rocprim17ROCPRIM_400000_NS6detail17trampoline_kernelINS0_14default_configENS1_22reduce_config_selectorIN6thrust23THRUST_200600_302600_NS5tupleIbffNS6_9null_typeES8_S8_S8_S8_S8_S8_EEEEZNS1_11reduce_implILb1ES3_NS6_11hip_rocprim26transform_input_iterator_tIS9_NS6_12zip_iteratorINS7_INS6_17counting_iteratorIiNS6_11use_defaultESG_SG_EENS6_6detail15normal_iteratorINS6_10device_ptrIfEEEES8_S8_S8_S8_S8_S8_S8_S8_EEEE15transform_tupleIifEEEPS9_S9_12reduce_tupleIifEEE10hipError_tPvRmT1_T2_T3_mT4_P12ihipStream_tbEUlT_E0_NS1_11comp_targetILNS1_3genE4ELNS1_11target_archE910ELNS1_3gpuE8ELNS1_3repE0EEENS1_30default_config_static_selectorELNS0_4arch9wavefront6targetE0EEEvSY_.private_seg_size, 0
	.set _ZN7rocprim17ROCPRIM_400000_NS6detail17trampoline_kernelINS0_14default_configENS1_22reduce_config_selectorIN6thrust23THRUST_200600_302600_NS5tupleIbffNS6_9null_typeES8_S8_S8_S8_S8_S8_EEEEZNS1_11reduce_implILb1ES3_NS6_11hip_rocprim26transform_input_iterator_tIS9_NS6_12zip_iteratorINS7_INS6_17counting_iteratorIiNS6_11use_defaultESG_SG_EENS6_6detail15normal_iteratorINS6_10device_ptrIfEEEES8_S8_S8_S8_S8_S8_S8_S8_EEEE15transform_tupleIifEEEPS9_S9_12reduce_tupleIifEEE10hipError_tPvRmT1_T2_T3_mT4_P12ihipStream_tbEUlT_E0_NS1_11comp_targetILNS1_3genE4ELNS1_11target_archE910ELNS1_3gpuE8ELNS1_3repE0EEENS1_30default_config_static_selectorELNS0_4arch9wavefront6targetE0EEEvSY_.uses_vcc, 0
	.set _ZN7rocprim17ROCPRIM_400000_NS6detail17trampoline_kernelINS0_14default_configENS1_22reduce_config_selectorIN6thrust23THRUST_200600_302600_NS5tupleIbffNS6_9null_typeES8_S8_S8_S8_S8_S8_EEEEZNS1_11reduce_implILb1ES3_NS6_11hip_rocprim26transform_input_iterator_tIS9_NS6_12zip_iteratorINS7_INS6_17counting_iteratorIiNS6_11use_defaultESG_SG_EENS6_6detail15normal_iteratorINS6_10device_ptrIfEEEES8_S8_S8_S8_S8_S8_S8_S8_EEEE15transform_tupleIifEEEPS9_S9_12reduce_tupleIifEEE10hipError_tPvRmT1_T2_T3_mT4_P12ihipStream_tbEUlT_E0_NS1_11comp_targetILNS1_3genE4ELNS1_11target_archE910ELNS1_3gpuE8ELNS1_3repE0EEENS1_30default_config_static_selectorELNS0_4arch9wavefront6targetE0EEEvSY_.uses_flat_scratch, 0
	.set _ZN7rocprim17ROCPRIM_400000_NS6detail17trampoline_kernelINS0_14default_configENS1_22reduce_config_selectorIN6thrust23THRUST_200600_302600_NS5tupleIbffNS6_9null_typeES8_S8_S8_S8_S8_S8_EEEEZNS1_11reduce_implILb1ES3_NS6_11hip_rocprim26transform_input_iterator_tIS9_NS6_12zip_iteratorINS7_INS6_17counting_iteratorIiNS6_11use_defaultESG_SG_EENS6_6detail15normal_iteratorINS6_10device_ptrIfEEEES8_S8_S8_S8_S8_S8_S8_S8_EEEE15transform_tupleIifEEEPS9_S9_12reduce_tupleIifEEE10hipError_tPvRmT1_T2_T3_mT4_P12ihipStream_tbEUlT_E0_NS1_11comp_targetILNS1_3genE4ELNS1_11target_archE910ELNS1_3gpuE8ELNS1_3repE0EEENS1_30default_config_static_selectorELNS0_4arch9wavefront6targetE0EEEvSY_.has_dyn_sized_stack, 0
	.set _ZN7rocprim17ROCPRIM_400000_NS6detail17trampoline_kernelINS0_14default_configENS1_22reduce_config_selectorIN6thrust23THRUST_200600_302600_NS5tupleIbffNS6_9null_typeES8_S8_S8_S8_S8_S8_EEEEZNS1_11reduce_implILb1ES3_NS6_11hip_rocprim26transform_input_iterator_tIS9_NS6_12zip_iteratorINS7_INS6_17counting_iteratorIiNS6_11use_defaultESG_SG_EENS6_6detail15normal_iteratorINS6_10device_ptrIfEEEES8_S8_S8_S8_S8_S8_S8_S8_EEEE15transform_tupleIifEEEPS9_S9_12reduce_tupleIifEEE10hipError_tPvRmT1_T2_T3_mT4_P12ihipStream_tbEUlT_E0_NS1_11comp_targetILNS1_3genE4ELNS1_11target_archE910ELNS1_3gpuE8ELNS1_3repE0EEENS1_30default_config_static_selectorELNS0_4arch9wavefront6targetE0EEEvSY_.has_recursion, 0
	.set _ZN7rocprim17ROCPRIM_400000_NS6detail17trampoline_kernelINS0_14default_configENS1_22reduce_config_selectorIN6thrust23THRUST_200600_302600_NS5tupleIbffNS6_9null_typeES8_S8_S8_S8_S8_S8_EEEEZNS1_11reduce_implILb1ES3_NS6_11hip_rocprim26transform_input_iterator_tIS9_NS6_12zip_iteratorINS7_INS6_17counting_iteratorIiNS6_11use_defaultESG_SG_EENS6_6detail15normal_iteratorINS6_10device_ptrIfEEEES8_S8_S8_S8_S8_S8_S8_S8_EEEE15transform_tupleIifEEEPS9_S9_12reduce_tupleIifEEE10hipError_tPvRmT1_T2_T3_mT4_P12ihipStream_tbEUlT_E0_NS1_11comp_targetILNS1_3genE4ELNS1_11target_archE910ELNS1_3gpuE8ELNS1_3repE0EEENS1_30default_config_static_selectorELNS0_4arch9wavefront6targetE0EEEvSY_.has_indirect_call, 0
	.section	.AMDGPU.csdata,"",@progbits
; Kernel info:
; codeLenInByte = 0
; TotalNumSgprs: 0
; NumVgprs: 0
; ScratchSize: 0
; MemoryBound: 0
; FloatMode: 240
; IeeeMode: 1
; LDSByteSize: 0 bytes/workgroup (compile time only)
; SGPRBlocks: 0
; VGPRBlocks: 0
; NumSGPRsForWavesPerEU: 1
; NumVGPRsForWavesPerEU: 1
; NamedBarCnt: 0
; Occupancy: 16
; WaveLimiterHint : 0
; COMPUTE_PGM_RSRC2:SCRATCH_EN: 0
; COMPUTE_PGM_RSRC2:USER_SGPR: 2
; COMPUTE_PGM_RSRC2:TRAP_HANDLER: 0
; COMPUTE_PGM_RSRC2:TGID_X_EN: 1
; COMPUTE_PGM_RSRC2:TGID_Y_EN: 0
; COMPUTE_PGM_RSRC2:TGID_Z_EN: 0
; COMPUTE_PGM_RSRC2:TIDIG_COMP_CNT: 0
	.section	.text._ZN7rocprim17ROCPRIM_400000_NS6detail17trampoline_kernelINS0_14default_configENS1_22reduce_config_selectorIN6thrust23THRUST_200600_302600_NS5tupleIbffNS6_9null_typeES8_S8_S8_S8_S8_S8_EEEEZNS1_11reduce_implILb1ES3_NS6_11hip_rocprim26transform_input_iterator_tIS9_NS6_12zip_iteratorINS7_INS6_17counting_iteratorIiNS6_11use_defaultESG_SG_EENS6_6detail15normal_iteratorINS6_10device_ptrIfEEEES8_S8_S8_S8_S8_S8_S8_S8_EEEE15transform_tupleIifEEEPS9_S9_12reduce_tupleIifEEE10hipError_tPvRmT1_T2_T3_mT4_P12ihipStream_tbEUlT_E0_NS1_11comp_targetILNS1_3genE3ELNS1_11target_archE908ELNS1_3gpuE7ELNS1_3repE0EEENS1_30default_config_static_selectorELNS0_4arch9wavefront6targetE0EEEvSY_,"axG",@progbits,_ZN7rocprim17ROCPRIM_400000_NS6detail17trampoline_kernelINS0_14default_configENS1_22reduce_config_selectorIN6thrust23THRUST_200600_302600_NS5tupleIbffNS6_9null_typeES8_S8_S8_S8_S8_S8_EEEEZNS1_11reduce_implILb1ES3_NS6_11hip_rocprim26transform_input_iterator_tIS9_NS6_12zip_iteratorINS7_INS6_17counting_iteratorIiNS6_11use_defaultESG_SG_EENS6_6detail15normal_iteratorINS6_10device_ptrIfEEEES8_S8_S8_S8_S8_S8_S8_S8_EEEE15transform_tupleIifEEEPS9_S9_12reduce_tupleIifEEE10hipError_tPvRmT1_T2_T3_mT4_P12ihipStream_tbEUlT_E0_NS1_11comp_targetILNS1_3genE3ELNS1_11target_archE908ELNS1_3gpuE7ELNS1_3repE0EEENS1_30default_config_static_selectorELNS0_4arch9wavefront6targetE0EEEvSY_,comdat
	.protected	_ZN7rocprim17ROCPRIM_400000_NS6detail17trampoline_kernelINS0_14default_configENS1_22reduce_config_selectorIN6thrust23THRUST_200600_302600_NS5tupleIbffNS6_9null_typeES8_S8_S8_S8_S8_S8_EEEEZNS1_11reduce_implILb1ES3_NS6_11hip_rocprim26transform_input_iterator_tIS9_NS6_12zip_iteratorINS7_INS6_17counting_iteratorIiNS6_11use_defaultESG_SG_EENS6_6detail15normal_iteratorINS6_10device_ptrIfEEEES8_S8_S8_S8_S8_S8_S8_S8_EEEE15transform_tupleIifEEEPS9_S9_12reduce_tupleIifEEE10hipError_tPvRmT1_T2_T3_mT4_P12ihipStream_tbEUlT_E0_NS1_11comp_targetILNS1_3genE3ELNS1_11target_archE908ELNS1_3gpuE7ELNS1_3repE0EEENS1_30default_config_static_selectorELNS0_4arch9wavefront6targetE0EEEvSY_ ; -- Begin function _ZN7rocprim17ROCPRIM_400000_NS6detail17trampoline_kernelINS0_14default_configENS1_22reduce_config_selectorIN6thrust23THRUST_200600_302600_NS5tupleIbffNS6_9null_typeES8_S8_S8_S8_S8_S8_EEEEZNS1_11reduce_implILb1ES3_NS6_11hip_rocprim26transform_input_iterator_tIS9_NS6_12zip_iteratorINS7_INS6_17counting_iteratorIiNS6_11use_defaultESG_SG_EENS6_6detail15normal_iteratorINS6_10device_ptrIfEEEES8_S8_S8_S8_S8_S8_S8_S8_EEEE15transform_tupleIifEEEPS9_S9_12reduce_tupleIifEEE10hipError_tPvRmT1_T2_T3_mT4_P12ihipStream_tbEUlT_E0_NS1_11comp_targetILNS1_3genE3ELNS1_11target_archE908ELNS1_3gpuE7ELNS1_3repE0EEENS1_30default_config_static_selectorELNS0_4arch9wavefront6targetE0EEEvSY_
	.globl	_ZN7rocprim17ROCPRIM_400000_NS6detail17trampoline_kernelINS0_14default_configENS1_22reduce_config_selectorIN6thrust23THRUST_200600_302600_NS5tupleIbffNS6_9null_typeES8_S8_S8_S8_S8_S8_EEEEZNS1_11reduce_implILb1ES3_NS6_11hip_rocprim26transform_input_iterator_tIS9_NS6_12zip_iteratorINS7_INS6_17counting_iteratorIiNS6_11use_defaultESG_SG_EENS6_6detail15normal_iteratorINS6_10device_ptrIfEEEES8_S8_S8_S8_S8_S8_S8_S8_EEEE15transform_tupleIifEEEPS9_S9_12reduce_tupleIifEEE10hipError_tPvRmT1_T2_T3_mT4_P12ihipStream_tbEUlT_E0_NS1_11comp_targetILNS1_3genE3ELNS1_11target_archE908ELNS1_3gpuE7ELNS1_3repE0EEENS1_30default_config_static_selectorELNS0_4arch9wavefront6targetE0EEEvSY_
	.p2align	8
	.type	_ZN7rocprim17ROCPRIM_400000_NS6detail17trampoline_kernelINS0_14default_configENS1_22reduce_config_selectorIN6thrust23THRUST_200600_302600_NS5tupleIbffNS6_9null_typeES8_S8_S8_S8_S8_S8_EEEEZNS1_11reduce_implILb1ES3_NS6_11hip_rocprim26transform_input_iterator_tIS9_NS6_12zip_iteratorINS7_INS6_17counting_iteratorIiNS6_11use_defaultESG_SG_EENS6_6detail15normal_iteratorINS6_10device_ptrIfEEEES8_S8_S8_S8_S8_S8_S8_S8_EEEE15transform_tupleIifEEEPS9_S9_12reduce_tupleIifEEE10hipError_tPvRmT1_T2_T3_mT4_P12ihipStream_tbEUlT_E0_NS1_11comp_targetILNS1_3genE3ELNS1_11target_archE908ELNS1_3gpuE7ELNS1_3repE0EEENS1_30default_config_static_selectorELNS0_4arch9wavefront6targetE0EEEvSY_,@function
_ZN7rocprim17ROCPRIM_400000_NS6detail17trampoline_kernelINS0_14default_configENS1_22reduce_config_selectorIN6thrust23THRUST_200600_302600_NS5tupleIbffNS6_9null_typeES8_S8_S8_S8_S8_S8_EEEEZNS1_11reduce_implILb1ES3_NS6_11hip_rocprim26transform_input_iterator_tIS9_NS6_12zip_iteratorINS7_INS6_17counting_iteratorIiNS6_11use_defaultESG_SG_EENS6_6detail15normal_iteratorINS6_10device_ptrIfEEEES8_S8_S8_S8_S8_S8_S8_S8_EEEE15transform_tupleIifEEEPS9_S9_12reduce_tupleIifEEE10hipError_tPvRmT1_T2_T3_mT4_P12ihipStream_tbEUlT_E0_NS1_11comp_targetILNS1_3genE3ELNS1_11target_archE908ELNS1_3gpuE7ELNS1_3repE0EEENS1_30default_config_static_selectorELNS0_4arch9wavefront6targetE0EEEvSY_: ; @_ZN7rocprim17ROCPRIM_400000_NS6detail17trampoline_kernelINS0_14default_configENS1_22reduce_config_selectorIN6thrust23THRUST_200600_302600_NS5tupleIbffNS6_9null_typeES8_S8_S8_S8_S8_S8_EEEEZNS1_11reduce_implILb1ES3_NS6_11hip_rocprim26transform_input_iterator_tIS9_NS6_12zip_iteratorINS7_INS6_17counting_iteratorIiNS6_11use_defaultESG_SG_EENS6_6detail15normal_iteratorINS6_10device_ptrIfEEEES8_S8_S8_S8_S8_S8_S8_S8_EEEE15transform_tupleIifEEEPS9_S9_12reduce_tupleIifEEE10hipError_tPvRmT1_T2_T3_mT4_P12ihipStream_tbEUlT_E0_NS1_11comp_targetILNS1_3genE3ELNS1_11target_archE908ELNS1_3gpuE7ELNS1_3repE0EEENS1_30default_config_static_selectorELNS0_4arch9wavefront6targetE0EEEvSY_
; %bb.0:
	.section	.rodata,"a",@progbits
	.p2align	6, 0x0
	.amdhsa_kernel _ZN7rocprim17ROCPRIM_400000_NS6detail17trampoline_kernelINS0_14default_configENS1_22reduce_config_selectorIN6thrust23THRUST_200600_302600_NS5tupleIbffNS6_9null_typeES8_S8_S8_S8_S8_S8_EEEEZNS1_11reduce_implILb1ES3_NS6_11hip_rocprim26transform_input_iterator_tIS9_NS6_12zip_iteratorINS7_INS6_17counting_iteratorIiNS6_11use_defaultESG_SG_EENS6_6detail15normal_iteratorINS6_10device_ptrIfEEEES8_S8_S8_S8_S8_S8_S8_S8_EEEE15transform_tupleIifEEEPS9_S9_12reduce_tupleIifEEE10hipError_tPvRmT1_T2_T3_mT4_P12ihipStream_tbEUlT_E0_NS1_11comp_targetILNS1_3genE3ELNS1_11target_archE908ELNS1_3gpuE7ELNS1_3repE0EEENS1_30default_config_static_selectorELNS0_4arch9wavefront6targetE0EEEvSY_
		.amdhsa_group_segment_fixed_size 0
		.amdhsa_private_segment_fixed_size 0
		.amdhsa_kernarg_size 80
		.amdhsa_user_sgpr_count 2
		.amdhsa_user_sgpr_dispatch_ptr 0
		.amdhsa_user_sgpr_queue_ptr 0
		.amdhsa_user_sgpr_kernarg_segment_ptr 1
		.amdhsa_user_sgpr_dispatch_id 0
		.amdhsa_user_sgpr_kernarg_preload_length 0
		.amdhsa_user_sgpr_kernarg_preload_offset 0
		.amdhsa_user_sgpr_private_segment_size 0
		.amdhsa_wavefront_size32 1
		.amdhsa_uses_dynamic_stack 0
		.amdhsa_enable_private_segment 0
		.amdhsa_system_sgpr_workgroup_id_x 1
		.amdhsa_system_sgpr_workgroup_id_y 0
		.amdhsa_system_sgpr_workgroup_id_z 0
		.amdhsa_system_sgpr_workgroup_info 0
		.amdhsa_system_vgpr_workitem_id 0
		.amdhsa_next_free_vgpr 1
		.amdhsa_next_free_sgpr 1
		.amdhsa_named_barrier_count 0
		.amdhsa_reserve_vcc 0
		.amdhsa_float_round_mode_32 0
		.amdhsa_float_round_mode_16_64 0
		.amdhsa_float_denorm_mode_32 3
		.amdhsa_float_denorm_mode_16_64 3
		.amdhsa_fp16_overflow 0
		.amdhsa_memory_ordered 1
		.amdhsa_forward_progress 1
		.amdhsa_inst_pref_size 0
		.amdhsa_round_robin_scheduling 0
		.amdhsa_exception_fp_ieee_invalid_op 0
		.amdhsa_exception_fp_denorm_src 0
		.amdhsa_exception_fp_ieee_div_zero 0
		.amdhsa_exception_fp_ieee_overflow 0
		.amdhsa_exception_fp_ieee_underflow 0
		.amdhsa_exception_fp_ieee_inexact 0
		.amdhsa_exception_int_div_zero 0
	.end_amdhsa_kernel
	.section	.text._ZN7rocprim17ROCPRIM_400000_NS6detail17trampoline_kernelINS0_14default_configENS1_22reduce_config_selectorIN6thrust23THRUST_200600_302600_NS5tupleIbffNS6_9null_typeES8_S8_S8_S8_S8_S8_EEEEZNS1_11reduce_implILb1ES3_NS6_11hip_rocprim26transform_input_iterator_tIS9_NS6_12zip_iteratorINS7_INS6_17counting_iteratorIiNS6_11use_defaultESG_SG_EENS6_6detail15normal_iteratorINS6_10device_ptrIfEEEES8_S8_S8_S8_S8_S8_S8_S8_EEEE15transform_tupleIifEEEPS9_S9_12reduce_tupleIifEEE10hipError_tPvRmT1_T2_T3_mT4_P12ihipStream_tbEUlT_E0_NS1_11comp_targetILNS1_3genE3ELNS1_11target_archE908ELNS1_3gpuE7ELNS1_3repE0EEENS1_30default_config_static_selectorELNS0_4arch9wavefront6targetE0EEEvSY_,"axG",@progbits,_ZN7rocprim17ROCPRIM_400000_NS6detail17trampoline_kernelINS0_14default_configENS1_22reduce_config_selectorIN6thrust23THRUST_200600_302600_NS5tupleIbffNS6_9null_typeES8_S8_S8_S8_S8_S8_EEEEZNS1_11reduce_implILb1ES3_NS6_11hip_rocprim26transform_input_iterator_tIS9_NS6_12zip_iteratorINS7_INS6_17counting_iteratorIiNS6_11use_defaultESG_SG_EENS6_6detail15normal_iteratorINS6_10device_ptrIfEEEES8_S8_S8_S8_S8_S8_S8_S8_EEEE15transform_tupleIifEEEPS9_S9_12reduce_tupleIifEEE10hipError_tPvRmT1_T2_T3_mT4_P12ihipStream_tbEUlT_E0_NS1_11comp_targetILNS1_3genE3ELNS1_11target_archE908ELNS1_3gpuE7ELNS1_3repE0EEENS1_30default_config_static_selectorELNS0_4arch9wavefront6targetE0EEEvSY_,comdat
.Lfunc_end22:
	.size	_ZN7rocprim17ROCPRIM_400000_NS6detail17trampoline_kernelINS0_14default_configENS1_22reduce_config_selectorIN6thrust23THRUST_200600_302600_NS5tupleIbffNS6_9null_typeES8_S8_S8_S8_S8_S8_EEEEZNS1_11reduce_implILb1ES3_NS6_11hip_rocprim26transform_input_iterator_tIS9_NS6_12zip_iteratorINS7_INS6_17counting_iteratorIiNS6_11use_defaultESG_SG_EENS6_6detail15normal_iteratorINS6_10device_ptrIfEEEES8_S8_S8_S8_S8_S8_S8_S8_EEEE15transform_tupleIifEEEPS9_S9_12reduce_tupleIifEEE10hipError_tPvRmT1_T2_T3_mT4_P12ihipStream_tbEUlT_E0_NS1_11comp_targetILNS1_3genE3ELNS1_11target_archE908ELNS1_3gpuE7ELNS1_3repE0EEENS1_30default_config_static_selectorELNS0_4arch9wavefront6targetE0EEEvSY_, .Lfunc_end22-_ZN7rocprim17ROCPRIM_400000_NS6detail17trampoline_kernelINS0_14default_configENS1_22reduce_config_selectorIN6thrust23THRUST_200600_302600_NS5tupleIbffNS6_9null_typeES8_S8_S8_S8_S8_S8_EEEEZNS1_11reduce_implILb1ES3_NS6_11hip_rocprim26transform_input_iterator_tIS9_NS6_12zip_iteratorINS7_INS6_17counting_iteratorIiNS6_11use_defaultESG_SG_EENS6_6detail15normal_iteratorINS6_10device_ptrIfEEEES8_S8_S8_S8_S8_S8_S8_S8_EEEE15transform_tupleIifEEEPS9_S9_12reduce_tupleIifEEE10hipError_tPvRmT1_T2_T3_mT4_P12ihipStream_tbEUlT_E0_NS1_11comp_targetILNS1_3genE3ELNS1_11target_archE908ELNS1_3gpuE7ELNS1_3repE0EEENS1_30default_config_static_selectorELNS0_4arch9wavefront6targetE0EEEvSY_
                                        ; -- End function
	.set _ZN7rocprim17ROCPRIM_400000_NS6detail17trampoline_kernelINS0_14default_configENS1_22reduce_config_selectorIN6thrust23THRUST_200600_302600_NS5tupleIbffNS6_9null_typeES8_S8_S8_S8_S8_S8_EEEEZNS1_11reduce_implILb1ES3_NS6_11hip_rocprim26transform_input_iterator_tIS9_NS6_12zip_iteratorINS7_INS6_17counting_iteratorIiNS6_11use_defaultESG_SG_EENS6_6detail15normal_iteratorINS6_10device_ptrIfEEEES8_S8_S8_S8_S8_S8_S8_S8_EEEE15transform_tupleIifEEEPS9_S9_12reduce_tupleIifEEE10hipError_tPvRmT1_T2_T3_mT4_P12ihipStream_tbEUlT_E0_NS1_11comp_targetILNS1_3genE3ELNS1_11target_archE908ELNS1_3gpuE7ELNS1_3repE0EEENS1_30default_config_static_selectorELNS0_4arch9wavefront6targetE0EEEvSY_.num_vgpr, 0
	.set _ZN7rocprim17ROCPRIM_400000_NS6detail17trampoline_kernelINS0_14default_configENS1_22reduce_config_selectorIN6thrust23THRUST_200600_302600_NS5tupleIbffNS6_9null_typeES8_S8_S8_S8_S8_S8_EEEEZNS1_11reduce_implILb1ES3_NS6_11hip_rocprim26transform_input_iterator_tIS9_NS6_12zip_iteratorINS7_INS6_17counting_iteratorIiNS6_11use_defaultESG_SG_EENS6_6detail15normal_iteratorINS6_10device_ptrIfEEEES8_S8_S8_S8_S8_S8_S8_S8_EEEE15transform_tupleIifEEEPS9_S9_12reduce_tupleIifEEE10hipError_tPvRmT1_T2_T3_mT4_P12ihipStream_tbEUlT_E0_NS1_11comp_targetILNS1_3genE3ELNS1_11target_archE908ELNS1_3gpuE7ELNS1_3repE0EEENS1_30default_config_static_selectorELNS0_4arch9wavefront6targetE0EEEvSY_.num_agpr, 0
	.set _ZN7rocprim17ROCPRIM_400000_NS6detail17trampoline_kernelINS0_14default_configENS1_22reduce_config_selectorIN6thrust23THRUST_200600_302600_NS5tupleIbffNS6_9null_typeES8_S8_S8_S8_S8_S8_EEEEZNS1_11reduce_implILb1ES3_NS6_11hip_rocprim26transform_input_iterator_tIS9_NS6_12zip_iteratorINS7_INS6_17counting_iteratorIiNS6_11use_defaultESG_SG_EENS6_6detail15normal_iteratorINS6_10device_ptrIfEEEES8_S8_S8_S8_S8_S8_S8_S8_EEEE15transform_tupleIifEEEPS9_S9_12reduce_tupleIifEEE10hipError_tPvRmT1_T2_T3_mT4_P12ihipStream_tbEUlT_E0_NS1_11comp_targetILNS1_3genE3ELNS1_11target_archE908ELNS1_3gpuE7ELNS1_3repE0EEENS1_30default_config_static_selectorELNS0_4arch9wavefront6targetE0EEEvSY_.numbered_sgpr, 0
	.set _ZN7rocprim17ROCPRIM_400000_NS6detail17trampoline_kernelINS0_14default_configENS1_22reduce_config_selectorIN6thrust23THRUST_200600_302600_NS5tupleIbffNS6_9null_typeES8_S8_S8_S8_S8_S8_EEEEZNS1_11reduce_implILb1ES3_NS6_11hip_rocprim26transform_input_iterator_tIS9_NS6_12zip_iteratorINS7_INS6_17counting_iteratorIiNS6_11use_defaultESG_SG_EENS6_6detail15normal_iteratorINS6_10device_ptrIfEEEES8_S8_S8_S8_S8_S8_S8_S8_EEEE15transform_tupleIifEEEPS9_S9_12reduce_tupleIifEEE10hipError_tPvRmT1_T2_T3_mT4_P12ihipStream_tbEUlT_E0_NS1_11comp_targetILNS1_3genE3ELNS1_11target_archE908ELNS1_3gpuE7ELNS1_3repE0EEENS1_30default_config_static_selectorELNS0_4arch9wavefront6targetE0EEEvSY_.num_named_barrier, 0
	.set _ZN7rocprim17ROCPRIM_400000_NS6detail17trampoline_kernelINS0_14default_configENS1_22reduce_config_selectorIN6thrust23THRUST_200600_302600_NS5tupleIbffNS6_9null_typeES8_S8_S8_S8_S8_S8_EEEEZNS1_11reduce_implILb1ES3_NS6_11hip_rocprim26transform_input_iterator_tIS9_NS6_12zip_iteratorINS7_INS6_17counting_iteratorIiNS6_11use_defaultESG_SG_EENS6_6detail15normal_iteratorINS6_10device_ptrIfEEEES8_S8_S8_S8_S8_S8_S8_S8_EEEE15transform_tupleIifEEEPS9_S9_12reduce_tupleIifEEE10hipError_tPvRmT1_T2_T3_mT4_P12ihipStream_tbEUlT_E0_NS1_11comp_targetILNS1_3genE3ELNS1_11target_archE908ELNS1_3gpuE7ELNS1_3repE0EEENS1_30default_config_static_selectorELNS0_4arch9wavefront6targetE0EEEvSY_.private_seg_size, 0
	.set _ZN7rocprim17ROCPRIM_400000_NS6detail17trampoline_kernelINS0_14default_configENS1_22reduce_config_selectorIN6thrust23THRUST_200600_302600_NS5tupleIbffNS6_9null_typeES8_S8_S8_S8_S8_S8_EEEEZNS1_11reduce_implILb1ES3_NS6_11hip_rocprim26transform_input_iterator_tIS9_NS6_12zip_iteratorINS7_INS6_17counting_iteratorIiNS6_11use_defaultESG_SG_EENS6_6detail15normal_iteratorINS6_10device_ptrIfEEEES8_S8_S8_S8_S8_S8_S8_S8_EEEE15transform_tupleIifEEEPS9_S9_12reduce_tupleIifEEE10hipError_tPvRmT1_T2_T3_mT4_P12ihipStream_tbEUlT_E0_NS1_11comp_targetILNS1_3genE3ELNS1_11target_archE908ELNS1_3gpuE7ELNS1_3repE0EEENS1_30default_config_static_selectorELNS0_4arch9wavefront6targetE0EEEvSY_.uses_vcc, 0
	.set _ZN7rocprim17ROCPRIM_400000_NS6detail17trampoline_kernelINS0_14default_configENS1_22reduce_config_selectorIN6thrust23THRUST_200600_302600_NS5tupleIbffNS6_9null_typeES8_S8_S8_S8_S8_S8_EEEEZNS1_11reduce_implILb1ES3_NS6_11hip_rocprim26transform_input_iterator_tIS9_NS6_12zip_iteratorINS7_INS6_17counting_iteratorIiNS6_11use_defaultESG_SG_EENS6_6detail15normal_iteratorINS6_10device_ptrIfEEEES8_S8_S8_S8_S8_S8_S8_S8_EEEE15transform_tupleIifEEEPS9_S9_12reduce_tupleIifEEE10hipError_tPvRmT1_T2_T3_mT4_P12ihipStream_tbEUlT_E0_NS1_11comp_targetILNS1_3genE3ELNS1_11target_archE908ELNS1_3gpuE7ELNS1_3repE0EEENS1_30default_config_static_selectorELNS0_4arch9wavefront6targetE0EEEvSY_.uses_flat_scratch, 0
	.set _ZN7rocprim17ROCPRIM_400000_NS6detail17trampoline_kernelINS0_14default_configENS1_22reduce_config_selectorIN6thrust23THRUST_200600_302600_NS5tupleIbffNS6_9null_typeES8_S8_S8_S8_S8_S8_EEEEZNS1_11reduce_implILb1ES3_NS6_11hip_rocprim26transform_input_iterator_tIS9_NS6_12zip_iteratorINS7_INS6_17counting_iteratorIiNS6_11use_defaultESG_SG_EENS6_6detail15normal_iteratorINS6_10device_ptrIfEEEES8_S8_S8_S8_S8_S8_S8_S8_EEEE15transform_tupleIifEEEPS9_S9_12reduce_tupleIifEEE10hipError_tPvRmT1_T2_T3_mT4_P12ihipStream_tbEUlT_E0_NS1_11comp_targetILNS1_3genE3ELNS1_11target_archE908ELNS1_3gpuE7ELNS1_3repE0EEENS1_30default_config_static_selectorELNS0_4arch9wavefront6targetE0EEEvSY_.has_dyn_sized_stack, 0
	.set _ZN7rocprim17ROCPRIM_400000_NS6detail17trampoline_kernelINS0_14default_configENS1_22reduce_config_selectorIN6thrust23THRUST_200600_302600_NS5tupleIbffNS6_9null_typeES8_S8_S8_S8_S8_S8_EEEEZNS1_11reduce_implILb1ES3_NS6_11hip_rocprim26transform_input_iterator_tIS9_NS6_12zip_iteratorINS7_INS6_17counting_iteratorIiNS6_11use_defaultESG_SG_EENS6_6detail15normal_iteratorINS6_10device_ptrIfEEEES8_S8_S8_S8_S8_S8_S8_S8_EEEE15transform_tupleIifEEEPS9_S9_12reduce_tupleIifEEE10hipError_tPvRmT1_T2_T3_mT4_P12ihipStream_tbEUlT_E0_NS1_11comp_targetILNS1_3genE3ELNS1_11target_archE908ELNS1_3gpuE7ELNS1_3repE0EEENS1_30default_config_static_selectorELNS0_4arch9wavefront6targetE0EEEvSY_.has_recursion, 0
	.set _ZN7rocprim17ROCPRIM_400000_NS6detail17trampoline_kernelINS0_14default_configENS1_22reduce_config_selectorIN6thrust23THRUST_200600_302600_NS5tupleIbffNS6_9null_typeES8_S8_S8_S8_S8_S8_EEEEZNS1_11reduce_implILb1ES3_NS6_11hip_rocprim26transform_input_iterator_tIS9_NS6_12zip_iteratorINS7_INS6_17counting_iteratorIiNS6_11use_defaultESG_SG_EENS6_6detail15normal_iteratorINS6_10device_ptrIfEEEES8_S8_S8_S8_S8_S8_S8_S8_EEEE15transform_tupleIifEEEPS9_S9_12reduce_tupleIifEEE10hipError_tPvRmT1_T2_T3_mT4_P12ihipStream_tbEUlT_E0_NS1_11comp_targetILNS1_3genE3ELNS1_11target_archE908ELNS1_3gpuE7ELNS1_3repE0EEENS1_30default_config_static_selectorELNS0_4arch9wavefront6targetE0EEEvSY_.has_indirect_call, 0
	.section	.AMDGPU.csdata,"",@progbits
; Kernel info:
; codeLenInByte = 0
; TotalNumSgprs: 0
; NumVgprs: 0
; ScratchSize: 0
; MemoryBound: 0
; FloatMode: 240
; IeeeMode: 1
; LDSByteSize: 0 bytes/workgroup (compile time only)
; SGPRBlocks: 0
; VGPRBlocks: 0
; NumSGPRsForWavesPerEU: 1
; NumVGPRsForWavesPerEU: 1
; NamedBarCnt: 0
; Occupancy: 16
; WaveLimiterHint : 0
; COMPUTE_PGM_RSRC2:SCRATCH_EN: 0
; COMPUTE_PGM_RSRC2:USER_SGPR: 2
; COMPUTE_PGM_RSRC2:TRAP_HANDLER: 0
; COMPUTE_PGM_RSRC2:TGID_X_EN: 1
; COMPUTE_PGM_RSRC2:TGID_Y_EN: 0
; COMPUTE_PGM_RSRC2:TGID_Z_EN: 0
; COMPUTE_PGM_RSRC2:TIDIG_COMP_CNT: 0
	.section	.text._ZN7rocprim17ROCPRIM_400000_NS6detail17trampoline_kernelINS0_14default_configENS1_22reduce_config_selectorIN6thrust23THRUST_200600_302600_NS5tupleIbffNS6_9null_typeES8_S8_S8_S8_S8_S8_EEEEZNS1_11reduce_implILb1ES3_NS6_11hip_rocprim26transform_input_iterator_tIS9_NS6_12zip_iteratorINS7_INS6_17counting_iteratorIiNS6_11use_defaultESG_SG_EENS6_6detail15normal_iteratorINS6_10device_ptrIfEEEES8_S8_S8_S8_S8_S8_S8_S8_EEEE15transform_tupleIifEEEPS9_S9_12reduce_tupleIifEEE10hipError_tPvRmT1_T2_T3_mT4_P12ihipStream_tbEUlT_E0_NS1_11comp_targetILNS1_3genE2ELNS1_11target_archE906ELNS1_3gpuE6ELNS1_3repE0EEENS1_30default_config_static_selectorELNS0_4arch9wavefront6targetE0EEEvSY_,"axG",@progbits,_ZN7rocprim17ROCPRIM_400000_NS6detail17trampoline_kernelINS0_14default_configENS1_22reduce_config_selectorIN6thrust23THRUST_200600_302600_NS5tupleIbffNS6_9null_typeES8_S8_S8_S8_S8_S8_EEEEZNS1_11reduce_implILb1ES3_NS6_11hip_rocprim26transform_input_iterator_tIS9_NS6_12zip_iteratorINS7_INS6_17counting_iteratorIiNS6_11use_defaultESG_SG_EENS6_6detail15normal_iteratorINS6_10device_ptrIfEEEES8_S8_S8_S8_S8_S8_S8_S8_EEEE15transform_tupleIifEEEPS9_S9_12reduce_tupleIifEEE10hipError_tPvRmT1_T2_T3_mT4_P12ihipStream_tbEUlT_E0_NS1_11comp_targetILNS1_3genE2ELNS1_11target_archE906ELNS1_3gpuE6ELNS1_3repE0EEENS1_30default_config_static_selectorELNS0_4arch9wavefront6targetE0EEEvSY_,comdat
	.protected	_ZN7rocprim17ROCPRIM_400000_NS6detail17trampoline_kernelINS0_14default_configENS1_22reduce_config_selectorIN6thrust23THRUST_200600_302600_NS5tupleIbffNS6_9null_typeES8_S8_S8_S8_S8_S8_EEEEZNS1_11reduce_implILb1ES3_NS6_11hip_rocprim26transform_input_iterator_tIS9_NS6_12zip_iteratorINS7_INS6_17counting_iteratorIiNS6_11use_defaultESG_SG_EENS6_6detail15normal_iteratorINS6_10device_ptrIfEEEES8_S8_S8_S8_S8_S8_S8_S8_EEEE15transform_tupleIifEEEPS9_S9_12reduce_tupleIifEEE10hipError_tPvRmT1_T2_T3_mT4_P12ihipStream_tbEUlT_E0_NS1_11comp_targetILNS1_3genE2ELNS1_11target_archE906ELNS1_3gpuE6ELNS1_3repE0EEENS1_30default_config_static_selectorELNS0_4arch9wavefront6targetE0EEEvSY_ ; -- Begin function _ZN7rocprim17ROCPRIM_400000_NS6detail17trampoline_kernelINS0_14default_configENS1_22reduce_config_selectorIN6thrust23THRUST_200600_302600_NS5tupleIbffNS6_9null_typeES8_S8_S8_S8_S8_S8_EEEEZNS1_11reduce_implILb1ES3_NS6_11hip_rocprim26transform_input_iterator_tIS9_NS6_12zip_iteratorINS7_INS6_17counting_iteratorIiNS6_11use_defaultESG_SG_EENS6_6detail15normal_iteratorINS6_10device_ptrIfEEEES8_S8_S8_S8_S8_S8_S8_S8_EEEE15transform_tupleIifEEEPS9_S9_12reduce_tupleIifEEE10hipError_tPvRmT1_T2_T3_mT4_P12ihipStream_tbEUlT_E0_NS1_11comp_targetILNS1_3genE2ELNS1_11target_archE906ELNS1_3gpuE6ELNS1_3repE0EEENS1_30default_config_static_selectorELNS0_4arch9wavefront6targetE0EEEvSY_
	.globl	_ZN7rocprim17ROCPRIM_400000_NS6detail17trampoline_kernelINS0_14default_configENS1_22reduce_config_selectorIN6thrust23THRUST_200600_302600_NS5tupleIbffNS6_9null_typeES8_S8_S8_S8_S8_S8_EEEEZNS1_11reduce_implILb1ES3_NS6_11hip_rocprim26transform_input_iterator_tIS9_NS6_12zip_iteratorINS7_INS6_17counting_iteratorIiNS6_11use_defaultESG_SG_EENS6_6detail15normal_iteratorINS6_10device_ptrIfEEEES8_S8_S8_S8_S8_S8_S8_S8_EEEE15transform_tupleIifEEEPS9_S9_12reduce_tupleIifEEE10hipError_tPvRmT1_T2_T3_mT4_P12ihipStream_tbEUlT_E0_NS1_11comp_targetILNS1_3genE2ELNS1_11target_archE906ELNS1_3gpuE6ELNS1_3repE0EEENS1_30default_config_static_selectorELNS0_4arch9wavefront6targetE0EEEvSY_
	.p2align	8
	.type	_ZN7rocprim17ROCPRIM_400000_NS6detail17trampoline_kernelINS0_14default_configENS1_22reduce_config_selectorIN6thrust23THRUST_200600_302600_NS5tupleIbffNS6_9null_typeES8_S8_S8_S8_S8_S8_EEEEZNS1_11reduce_implILb1ES3_NS6_11hip_rocprim26transform_input_iterator_tIS9_NS6_12zip_iteratorINS7_INS6_17counting_iteratorIiNS6_11use_defaultESG_SG_EENS6_6detail15normal_iteratorINS6_10device_ptrIfEEEES8_S8_S8_S8_S8_S8_S8_S8_EEEE15transform_tupleIifEEEPS9_S9_12reduce_tupleIifEEE10hipError_tPvRmT1_T2_T3_mT4_P12ihipStream_tbEUlT_E0_NS1_11comp_targetILNS1_3genE2ELNS1_11target_archE906ELNS1_3gpuE6ELNS1_3repE0EEENS1_30default_config_static_selectorELNS0_4arch9wavefront6targetE0EEEvSY_,@function
_ZN7rocprim17ROCPRIM_400000_NS6detail17trampoline_kernelINS0_14default_configENS1_22reduce_config_selectorIN6thrust23THRUST_200600_302600_NS5tupleIbffNS6_9null_typeES8_S8_S8_S8_S8_S8_EEEEZNS1_11reduce_implILb1ES3_NS6_11hip_rocprim26transform_input_iterator_tIS9_NS6_12zip_iteratorINS7_INS6_17counting_iteratorIiNS6_11use_defaultESG_SG_EENS6_6detail15normal_iteratorINS6_10device_ptrIfEEEES8_S8_S8_S8_S8_S8_S8_S8_EEEE15transform_tupleIifEEEPS9_S9_12reduce_tupleIifEEE10hipError_tPvRmT1_T2_T3_mT4_P12ihipStream_tbEUlT_E0_NS1_11comp_targetILNS1_3genE2ELNS1_11target_archE906ELNS1_3gpuE6ELNS1_3repE0EEENS1_30default_config_static_selectorELNS0_4arch9wavefront6targetE0EEEvSY_: ; @_ZN7rocprim17ROCPRIM_400000_NS6detail17trampoline_kernelINS0_14default_configENS1_22reduce_config_selectorIN6thrust23THRUST_200600_302600_NS5tupleIbffNS6_9null_typeES8_S8_S8_S8_S8_S8_EEEEZNS1_11reduce_implILb1ES3_NS6_11hip_rocprim26transform_input_iterator_tIS9_NS6_12zip_iteratorINS7_INS6_17counting_iteratorIiNS6_11use_defaultESG_SG_EENS6_6detail15normal_iteratorINS6_10device_ptrIfEEEES8_S8_S8_S8_S8_S8_S8_S8_EEEE15transform_tupleIifEEEPS9_S9_12reduce_tupleIifEEE10hipError_tPvRmT1_T2_T3_mT4_P12ihipStream_tbEUlT_E0_NS1_11comp_targetILNS1_3genE2ELNS1_11target_archE906ELNS1_3gpuE6ELNS1_3repE0EEENS1_30default_config_static_selectorELNS0_4arch9wavefront6targetE0EEEvSY_
; %bb.0:
	.section	.rodata,"a",@progbits
	.p2align	6, 0x0
	.amdhsa_kernel _ZN7rocprim17ROCPRIM_400000_NS6detail17trampoline_kernelINS0_14default_configENS1_22reduce_config_selectorIN6thrust23THRUST_200600_302600_NS5tupleIbffNS6_9null_typeES8_S8_S8_S8_S8_S8_EEEEZNS1_11reduce_implILb1ES3_NS6_11hip_rocprim26transform_input_iterator_tIS9_NS6_12zip_iteratorINS7_INS6_17counting_iteratorIiNS6_11use_defaultESG_SG_EENS6_6detail15normal_iteratorINS6_10device_ptrIfEEEES8_S8_S8_S8_S8_S8_S8_S8_EEEE15transform_tupleIifEEEPS9_S9_12reduce_tupleIifEEE10hipError_tPvRmT1_T2_T3_mT4_P12ihipStream_tbEUlT_E0_NS1_11comp_targetILNS1_3genE2ELNS1_11target_archE906ELNS1_3gpuE6ELNS1_3repE0EEENS1_30default_config_static_selectorELNS0_4arch9wavefront6targetE0EEEvSY_
		.amdhsa_group_segment_fixed_size 0
		.amdhsa_private_segment_fixed_size 0
		.amdhsa_kernarg_size 80
		.amdhsa_user_sgpr_count 2
		.amdhsa_user_sgpr_dispatch_ptr 0
		.amdhsa_user_sgpr_queue_ptr 0
		.amdhsa_user_sgpr_kernarg_segment_ptr 1
		.amdhsa_user_sgpr_dispatch_id 0
		.amdhsa_user_sgpr_kernarg_preload_length 0
		.amdhsa_user_sgpr_kernarg_preload_offset 0
		.amdhsa_user_sgpr_private_segment_size 0
		.amdhsa_wavefront_size32 1
		.amdhsa_uses_dynamic_stack 0
		.amdhsa_enable_private_segment 0
		.amdhsa_system_sgpr_workgroup_id_x 1
		.amdhsa_system_sgpr_workgroup_id_y 0
		.amdhsa_system_sgpr_workgroup_id_z 0
		.amdhsa_system_sgpr_workgroup_info 0
		.amdhsa_system_vgpr_workitem_id 0
		.amdhsa_next_free_vgpr 1
		.amdhsa_next_free_sgpr 1
		.amdhsa_named_barrier_count 0
		.amdhsa_reserve_vcc 0
		.amdhsa_float_round_mode_32 0
		.amdhsa_float_round_mode_16_64 0
		.amdhsa_float_denorm_mode_32 3
		.amdhsa_float_denorm_mode_16_64 3
		.amdhsa_fp16_overflow 0
		.amdhsa_memory_ordered 1
		.amdhsa_forward_progress 1
		.amdhsa_inst_pref_size 0
		.amdhsa_round_robin_scheduling 0
		.amdhsa_exception_fp_ieee_invalid_op 0
		.amdhsa_exception_fp_denorm_src 0
		.amdhsa_exception_fp_ieee_div_zero 0
		.amdhsa_exception_fp_ieee_overflow 0
		.amdhsa_exception_fp_ieee_underflow 0
		.amdhsa_exception_fp_ieee_inexact 0
		.amdhsa_exception_int_div_zero 0
	.end_amdhsa_kernel
	.section	.text._ZN7rocprim17ROCPRIM_400000_NS6detail17trampoline_kernelINS0_14default_configENS1_22reduce_config_selectorIN6thrust23THRUST_200600_302600_NS5tupleIbffNS6_9null_typeES8_S8_S8_S8_S8_S8_EEEEZNS1_11reduce_implILb1ES3_NS6_11hip_rocprim26transform_input_iterator_tIS9_NS6_12zip_iteratorINS7_INS6_17counting_iteratorIiNS6_11use_defaultESG_SG_EENS6_6detail15normal_iteratorINS6_10device_ptrIfEEEES8_S8_S8_S8_S8_S8_S8_S8_EEEE15transform_tupleIifEEEPS9_S9_12reduce_tupleIifEEE10hipError_tPvRmT1_T2_T3_mT4_P12ihipStream_tbEUlT_E0_NS1_11comp_targetILNS1_3genE2ELNS1_11target_archE906ELNS1_3gpuE6ELNS1_3repE0EEENS1_30default_config_static_selectorELNS0_4arch9wavefront6targetE0EEEvSY_,"axG",@progbits,_ZN7rocprim17ROCPRIM_400000_NS6detail17trampoline_kernelINS0_14default_configENS1_22reduce_config_selectorIN6thrust23THRUST_200600_302600_NS5tupleIbffNS6_9null_typeES8_S8_S8_S8_S8_S8_EEEEZNS1_11reduce_implILb1ES3_NS6_11hip_rocprim26transform_input_iterator_tIS9_NS6_12zip_iteratorINS7_INS6_17counting_iteratorIiNS6_11use_defaultESG_SG_EENS6_6detail15normal_iteratorINS6_10device_ptrIfEEEES8_S8_S8_S8_S8_S8_S8_S8_EEEE15transform_tupleIifEEEPS9_S9_12reduce_tupleIifEEE10hipError_tPvRmT1_T2_T3_mT4_P12ihipStream_tbEUlT_E0_NS1_11comp_targetILNS1_3genE2ELNS1_11target_archE906ELNS1_3gpuE6ELNS1_3repE0EEENS1_30default_config_static_selectorELNS0_4arch9wavefront6targetE0EEEvSY_,comdat
.Lfunc_end23:
	.size	_ZN7rocprim17ROCPRIM_400000_NS6detail17trampoline_kernelINS0_14default_configENS1_22reduce_config_selectorIN6thrust23THRUST_200600_302600_NS5tupleIbffNS6_9null_typeES8_S8_S8_S8_S8_S8_EEEEZNS1_11reduce_implILb1ES3_NS6_11hip_rocprim26transform_input_iterator_tIS9_NS6_12zip_iteratorINS7_INS6_17counting_iteratorIiNS6_11use_defaultESG_SG_EENS6_6detail15normal_iteratorINS6_10device_ptrIfEEEES8_S8_S8_S8_S8_S8_S8_S8_EEEE15transform_tupleIifEEEPS9_S9_12reduce_tupleIifEEE10hipError_tPvRmT1_T2_T3_mT4_P12ihipStream_tbEUlT_E0_NS1_11comp_targetILNS1_3genE2ELNS1_11target_archE906ELNS1_3gpuE6ELNS1_3repE0EEENS1_30default_config_static_selectorELNS0_4arch9wavefront6targetE0EEEvSY_, .Lfunc_end23-_ZN7rocprim17ROCPRIM_400000_NS6detail17trampoline_kernelINS0_14default_configENS1_22reduce_config_selectorIN6thrust23THRUST_200600_302600_NS5tupleIbffNS6_9null_typeES8_S8_S8_S8_S8_S8_EEEEZNS1_11reduce_implILb1ES3_NS6_11hip_rocprim26transform_input_iterator_tIS9_NS6_12zip_iteratorINS7_INS6_17counting_iteratorIiNS6_11use_defaultESG_SG_EENS6_6detail15normal_iteratorINS6_10device_ptrIfEEEES8_S8_S8_S8_S8_S8_S8_S8_EEEE15transform_tupleIifEEEPS9_S9_12reduce_tupleIifEEE10hipError_tPvRmT1_T2_T3_mT4_P12ihipStream_tbEUlT_E0_NS1_11comp_targetILNS1_3genE2ELNS1_11target_archE906ELNS1_3gpuE6ELNS1_3repE0EEENS1_30default_config_static_selectorELNS0_4arch9wavefront6targetE0EEEvSY_
                                        ; -- End function
	.set _ZN7rocprim17ROCPRIM_400000_NS6detail17trampoline_kernelINS0_14default_configENS1_22reduce_config_selectorIN6thrust23THRUST_200600_302600_NS5tupleIbffNS6_9null_typeES8_S8_S8_S8_S8_S8_EEEEZNS1_11reduce_implILb1ES3_NS6_11hip_rocprim26transform_input_iterator_tIS9_NS6_12zip_iteratorINS7_INS6_17counting_iteratorIiNS6_11use_defaultESG_SG_EENS6_6detail15normal_iteratorINS6_10device_ptrIfEEEES8_S8_S8_S8_S8_S8_S8_S8_EEEE15transform_tupleIifEEEPS9_S9_12reduce_tupleIifEEE10hipError_tPvRmT1_T2_T3_mT4_P12ihipStream_tbEUlT_E0_NS1_11comp_targetILNS1_3genE2ELNS1_11target_archE906ELNS1_3gpuE6ELNS1_3repE0EEENS1_30default_config_static_selectorELNS0_4arch9wavefront6targetE0EEEvSY_.num_vgpr, 0
	.set _ZN7rocprim17ROCPRIM_400000_NS6detail17trampoline_kernelINS0_14default_configENS1_22reduce_config_selectorIN6thrust23THRUST_200600_302600_NS5tupleIbffNS6_9null_typeES8_S8_S8_S8_S8_S8_EEEEZNS1_11reduce_implILb1ES3_NS6_11hip_rocprim26transform_input_iterator_tIS9_NS6_12zip_iteratorINS7_INS6_17counting_iteratorIiNS6_11use_defaultESG_SG_EENS6_6detail15normal_iteratorINS6_10device_ptrIfEEEES8_S8_S8_S8_S8_S8_S8_S8_EEEE15transform_tupleIifEEEPS9_S9_12reduce_tupleIifEEE10hipError_tPvRmT1_T2_T3_mT4_P12ihipStream_tbEUlT_E0_NS1_11comp_targetILNS1_3genE2ELNS1_11target_archE906ELNS1_3gpuE6ELNS1_3repE0EEENS1_30default_config_static_selectorELNS0_4arch9wavefront6targetE0EEEvSY_.num_agpr, 0
	.set _ZN7rocprim17ROCPRIM_400000_NS6detail17trampoline_kernelINS0_14default_configENS1_22reduce_config_selectorIN6thrust23THRUST_200600_302600_NS5tupleIbffNS6_9null_typeES8_S8_S8_S8_S8_S8_EEEEZNS1_11reduce_implILb1ES3_NS6_11hip_rocprim26transform_input_iterator_tIS9_NS6_12zip_iteratorINS7_INS6_17counting_iteratorIiNS6_11use_defaultESG_SG_EENS6_6detail15normal_iteratorINS6_10device_ptrIfEEEES8_S8_S8_S8_S8_S8_S8_S8_EEEE15transform_tupleIifEEEPS9_S9_12reduce_tupleIifEEE10hipError_tPvRmT1_T2_T3_mT4_P12ihipStream_tbEUlT_E0_NS1_11comp_targetILNS1_3genE2ELNS1_11target_archE906ELNS1_3gpuE6ELNS1_3repE0EEENS1_30default_config_static_selectorELNS0_4arch9wavefront6targetE0EEEvSY_.numbered_sgpr, 0
	.set _ZN7rocprim17ROCPRIM_400000_NS6detail17trampoline_kernelINS0_14default_configENS1_22reduce_config_selectorIN6thrust23THRUST_200600_302600_NS5tupleIbffNS6_9null_typeES8_S8_S8_S8_S8_S8_EEEEZNS1_11reduce_implILb1ES3_NS6_11hip_rocprim26transform_input_iterator_tIS9_NS6_12zip_iteratorINS7_INS6_17counting_iteratorIiNS6_11use_defaultESG_SG_EENS6_6detail15normal_iteratorINS6_10device_ptrIfEEEES8_S8_S8_S8_S8_S8_S8_S8_EEEE15transform_tupleIifEEEPS9_S9_12reduce_tupleIifEEE10hipError_tPvRmT1_T2_T3_mT4_P12ihipStream_tbEUlT_E0_NS1_11comp_targetILNS1_3genE2ELNS1_11target_archE906ELNS1_3gpuE6ELNS1_3repE0EEENS1_30default_config_static_selectorELNS0_4arch9wavefront6targetE0EEEvSY_.num_named_barrier, 0
	.set _ZN7rocprim17ROCPRIM_400000_NS6detail17trampoline_kernelINS0_14default_configENS1_22reduce_config_selectorIN6thrust23THRUST_200600_302600_NS5tupleIbffNS6_9null_typeES8_S8_S8_S8_S8_S8_EEEEZNS1_11reduce_implILb1ES3_NS6_11hip_rocprim26transform_input_iterator_tIS9_NS6_12zip_iteratorINS7_INS6_17counting_iteratorIiNS6_11use_defaultESG_SG_EENS6_6detail15normal_iteratorINS6_10device_ptrIfEEEES8_S8_S8_S8_S8_S8_S8_S8_EEEE15transform_tupleIifEEEPS9_S9_12reduce_tupleIifEEE10hipError_tPvRmT1_T2_T3_mT4_P12ihipStream_tbEUlT_E0_NS1_11comp_targetILNS1_3genE2ELNS1_11target_archE906ELNS1_3gpuE6ELNS1_3repE0EEENS1_30default_config_static_selectorELNS0_4arch9wavefront6targetE0EEEvSY_.private_seg_size, 0
	.set _ZN7rocprim17ROCPRIM_400000_NS6detail17trampoline_kernelINS0_14default_configENS1_22reduce_config_selectorIN6thrust23THRUST_200600_302600_NS5tupleIbffNS6_9null_typeES8_S8_S8_S8_S8_S8_EEEEZNS1_11reduce_implILb1ES3_NS6_11hip_rocprim26transform_input_iterator_tIS9_NS6_12zip_iteratorINS7_INS6_17counting_iteratorIiNS6_11use_defaultESG_SG_EENS6_6detail15normal_iteratorINS6_10device_ptrIfEEEES8_S8_S8_S8_S8_S8_S8_S8_EEEE15transform_tupleIifEEEPS9_S9_12reduce_tupleIifEEE10hipError_tPvRmT1_T2_T3_mT4_P12ihipStream_tbEUlT_E0_NS1_11comp_targetILNS1_3genE2ELNS1_11target_archE906ELNS1_3gpuE6ELNS1_3repE0EEENS1_30default_config_static_selectorELNS0_4arch9wavefront6targetE0EEEvSY_.uses_vcc, 0
	.set _ZN7rocprim17ROCPRIM_400000_NS6detail17trampoline_kernelINS0_14default_configENS1_22reduce_config_selectorIN6thrust23THRUST_200600_302600_NS5tupleIbffNS6_9null_typeES8_S8_S8_S8_S8_S8_EEEEZNS1_11reduce_implILb1ES3_NS6_11hip_rocprim26transform_input_iterator_tIS9_NS6_12zip_iteratorINS7_INS6_17counting_iteratorIiNS6_11use_defaultESG_SG_EENS6_6detail15normal_iteratorINS6_10device_ptrIfEEEES8_S8_S8_S8_S8_S8_S8_S8_EEEE15transform_tupleIifEEEPS9_S9_12reduce_tupleIifEEE10hipError_tPvRmT1_T2_T3_mT4_P12ihipStream_tbEUlT_E0_NS1_11comp_targetILNS1_3genE2ELNS1_11target_archE906ELNS1_3gpuE6ELNS1_3repE0EEENS1_30default_config_static_selectorELNS0_4arch9wavefront6targetE0EEEvSY_.uses_flat_scratch, 0
	.set _ZN7rocprim17ROCPRIM_400000_NS6detail17trampoline_kernelINS0_14default_configENS1_22reduce_config_selectorIN6thrust23THRUST_200600_302600_NS5tupleIbffNS6_9null_typeES8_S8_S8_S8_S8_S8_EEEEZNS1_11reduce_implILb1ES3_NS6_11hip_rocprim26transform_input_iterator_tIS9_NS6_12zip_iteratorINS7_INS6_17counting_iteratorIiNS6_11use_defaultESG_SG_EENS6_6detail15normal_iteratorINS6_10device_ptrIfEEEES8_S8_S8_S8_S8_S8_S8_S8_EEEE15transform_tupleIifEEEPS9_S9_12reduce_tupleIifEEE10hipError_tPvRmT1_T2_T3_mT4_P12ihipStream_tbEUlT_E0_NS1_11comp_targetILNS1_3genE2ELNS1_11target_archE906ELNS1_3gpuE6ELNS1_3repE0EEENS1_30default_config_static_selectorELNS0_4arch9wavefront6targetE0EEEvSY_.has_dyn_sized_stack, 0
	.set _ZN7rocprim17ROCPRIM_400000_NS6detail17trampoline_kernelINS0_14default_configENS1_22reduce_config_selectorIN6thrust23THRUST_200600_302600_NS5tupleIbffNS6_9null_typeES8_S8_S8_S8_S8_S8_EEEEZNS1_11reduce_implILb1ES3_NS6_11hip_rocprim26transform_input_iterator_tIS9_NS6_12zip_iteratorINS7_INS6_17counting_iteratorIiNS6_11use_defaultESG_SG_EENS6_6detail15normal_iteratorINS6_10device_ptrIfEEEES8_S8_S8_S8_S8_S8_S8_S8_EEEE15transform_tupleIifEEEPS9_S9_12reduce_tupleIifEEE10hipError_tPvRmT1_T2_T3_mT4_P12ihipStream_tbEUlT_E0_NS1_11comp_targetILNS1_3genE2ELNS1_11target_archE906ELNS1_3gpuE6ELNS1_3repE0EEENS1_30default_config_static_selectorELNS0_4arch9wavefront6targetE0EEEvSY_.has_recursion, 0
	.set _ZN7rocprim17ROCPRIM_400000_NS6detail17trampoline_kernelINS0_14default_configENS1_22reduce_config_selectorIN6thrust23THRUST_200600_302600_NS5tupleIbffNS6_9null_typeES8_S8_S8_S8_S8_S8_EEEEZNS1_11reduce_implILb1ES3_NS6_11hip_rocprim26transform_input_iterator_tIS9_NS6_12zip_iteratorINS7_INS6_17counting_iteratorIiNS6_11use_defaultESG_SG_EENS6_6detail15normal_iteratorINS6_10device_ptrIfEEEES8_S8_S8_S8_S8_S8_S8_S8_EEEE15transform_tupleIifEEEPS9_S9_12reduce_tupleIifEEE10hipError_tPvRmT1_T2_T3_mT4_P12ihipStream_tbEUlT_E0_NS1_11comp_targetILNS1_3genE2ELNS1_11target_archE906ELNS1_3gpuE6ELNS1_3repE0EEENS1_30default_config_static_selectorELNS0_4arch9wavefront6targetE0EEEvSY_.has_indirect_call, 0
	.section	.AMDGPU.csdata,"",@progbits
; Kernel info:
; codeLenInByte = 0
; TotalNumSgprs: 0
; NumVgprs: 0
; ScratchSize: 0
; MemoryBound: 0
; FloatMode: 240
; IeeeMode: 1
; LDSByteSize: 0 bytes/workgroup (compile time only)
; SGPRBlocks: 0
; VGPRBlocks: 0
; NumSGPRsForWavesPerEU: 1
; NumVGPRsForWavesPerEU: 1
; NamedBarCnt: 0
; Occupancy: 16
; WaveLimiterHint : 0
; COMPUTE_PGM_RSRC2:SCRATCH_EN: 0
; COMPUTE_PGM_RSRC2:USER_SGPR: 2
; COMPUTE_PGM_RSRC2:TRAP_HANDLER: 0
; COMPUTE_PGM_RSRC2:TGID_X_EN: 1
; COMPUTE_PGM_RSRC2:TGID_Y_EN: 0
; COMPUTE_PGM_RSRC2:TGID_Z_EN: 0
; COMPUTE_PGM_RSRC2:TIDIG_COMP_CNT: 0
	.section	.text._ZN7rocprim17ROCPRIM_400000_NS6detail17trampoline_kernelINS0_14default_configENS1_22reduce_config_selectorIN6thrust23THRUST_200600_302600_NS5tupleIbffNS6_9null_typeES8_S8_S8_S8_S8_S8_EEEEZNS1_11reduce_implILb1ES3_NS6_11hip_rocprim26transform_input_iterator_tIS9_NS6_12zip_iteratorINS7_INS6_17counting_iteratorIiNS6_11use_defaultESG_SG_EENS6_6detail15normal_iteratorINS6_10device_ptrIfEEEES8_S8_S8_S8_S8_S8_S8_S8_EEEE15transform_tupleIifEEEPS9_S9_12reduce_tupleIifEEE10hipError_tPvRmT1_T2_T3_mT4_P12ihipStream_tbEUlT_E0_NS1_11comp_targetILNS1_3genE10ELNS1_11target_archE1201ELNS1_3gpuE5ELNS1_3repE0EEENS1_30default_config_static_selectorELNS0_4arch9wavefront6targetE0EEEvSY_,"axG",@progbits,_ZN7rocprim17ROCPRIM_400000_NS6detail17trampoline_kernelINS0_14default_configENS1_22reduce_config_selectorIN6thrust23THRUST_200600_302600_NS5tupleIbffNS6_9null_typeES8_S8_S8_S8_S8_S8_EEEEZNS1_11reduce_implILb1ES3_NS6_11hip_rocprim26transform_input_iterator_tIS9_NS6_12zip_iteratorINS7_INS6_17counting_iteratorIiNS6_11use_defaultESG_SG_EENS6_6detail15normal_iteratorINS6_10device_ptrIfEEEES8_S8_S8_S8_S8_S8_S8_S8_EEEE15transform_tupleIifEEEPS9_S9_12reduce_tupleIifEEE10hipError_tPvRmT1_T2_T3_mT4_P12ihipStream_tbEUlT_E0_NS1_11comp_targetILNS1_3genE10ELNS1_11target_archE1201ELNS1_3gpuE5ELNS1_3repE0EEENS1_30default_config_static_selectorELNS0_4arch9wavefront6targetE0EEEvSY_,comdat
	.protected	_ZN7rocprim17ROCPRIM_400000_NS6detail17trampoline_kernelINS0_14default_configENS1_22reduce_config_selectorIN6thrust23THRUST_200600_302600_NS5tupleIbffNS6_9null_typeES8_S8_S8_S8_S8_S8_EEEEZNS1_11reduce_implILb1ES3_NS6_11hip_rocprim26transform_input_iterator_tIS9_NS6_12zip_iteratorINS7_INS6_17counting_iteratorIiNS6_11use_defaultESG_SG_EENS6_6detail15normal_iteratorINS6_10device_ptrIfEEEES8_S8_S8_S8_S8_S8_S8_S8_EEEE15transform_tupleIifEEEPS9_S9_12reduce_tupleIifEEE10hipError_tPvRmT1_T2_T3_mT4_P12ihipStream_tbEUlT_E0_NS1_11comp_targetILNS1_3genE10ELNS1_11target_archE1201ELNS1_3gpuE5ELNS1_3repE0EEENS1_30default_config_static_selectorELNS0_4arch9wavefront6targetE0EEEvSY_ ; -- Begin function _ZN7rocprim17ROCPRIM_400000_NS6detail17trampoline_kernelINS0_14default_configENS1_22reduce_config_selectorIN6thrust23THRUST_200600_302600_NS5tupleIbffNS6_9null_typeES8_S8_S8_S8_S8_S8_EEEEZNS1_11reduce_implILb1ES3_NS6_11hip_rocprim26transform_input_iterator_tIS9_NS6_12zip_iteratorINS7_INS6_17counting_iteratorIiNS6_11use_defaultESG_SG_EENS6_6detail15normal_iteratorINS6_10device_ptrIfEEEES8_S8_S8_S8_S8_S8_S8_S8_EEEE15transform_tupleIifEEEPS9_S9_12reduce_tupleIifEEE10hipError_tPvRmT1_T2_T3_mT4_P12ihipStream_tbEUlT_E0_NS1_11comp_targetILNS1_3genE10ELNS1_11target_archE1201ELNS1_3gpuE5ELNS1_3repE0EEENS1_30default_config_static_selectorELNS0_4arch9wavefront6targetE0EEEvSY_
	.globl	_ZN7rocprim17ROCPRIM_400000_NS6detail17trampoline_kernelINS0_14default_configENS1_22reduce_config_selectorIN6thrust23THRUST_200600_302600_NS5tupleIbffNS6_9null_typeES8_S8_S8_S8_S8_S8_EEEEZNS1_11reduce_implILb1ES3_NS6_11hip_rocprim26transform_input_iterator_tIS9_NS6_12zip_iteratorINS7_INS6_17counting_iteratorIiNS6_11use_defaultESG_SG_EENS6_6detail15normal_iteratorINS6_10device_ptrIfEEEES8_S8_S8_S8_S8_S8_S8_S8_EEEE15transform_tupleIifEEEPS9_S9_12reduce_tupleIifEEE10hipError_tPvRmT1_T2_T3_mT4_P12ihipStream_tbEUlT_E0_NS1_11comp_targetILNS1_3genE10ELNS1_11target_archE1201ELNS1_3gpuE5ELNS1_3repE0EEENS1_30default_config_static_selectorELNS0_4arch9wavefront6targetE0EEEvSY_
	.p2align	8
	.type	_ZN7rocprim17ROCPRIM_400000_NS6detail17trampoline_kernelINS0_14default_configENS1_22reduce_config_selectorIN6thrust23THRUST_200600_302600_NS5tupleIbffNS6_9null_typeES8_S8_S8_S8_S8_S8_EEEEZNS1_11reduce_implILb1ES3_NS6_11hip_rocprim26transform_input_iterator_tIS9_NS6_12zip_iteratorINS7_INS6_17counting_iteratorIiNS6_11use_defaultESG_SG_EENS6_6detail15normal_iteratorINS6_10device_ptrIfEEEES8_S8_S8_S8_S8_S8_S8_S8_EEEE15transform_tupleIifEEEPS9_S9_12reduce_tupleIifEEE10hipError_tPvRmT1_T2_T3_mT4_P12ihipStream_tbEUlT_E0_NS1_11comp_targetILNS1_3genE10ELNS1_11target_archE1201ELNS1_3gpuE5ELNS1_3repE0EEENS1_30default_config_static_selectorELNS0_4arch9wavefront6targetE0EEEvSY_,@function
_ZN7rocprim17ROCPRIM_400000_NS6detail17trampoline_kernelINS0_14default_configENS1_22reduce_config_selectorIN6thrust23THRUST_200600_302600_NS5tupleIbffNS6_9null_typeES8_S8_S8_S8_S8_S8_EEEEZNS1_11reduce_implILb1ES3_NS6_11hip_rocprim26transform_input_iterator_tIS9_NS6_12zip_iteratorINS7_INS6_17counting_iteratorIiNS6_11use_defaultESG_SG_EENS6_6detail15normal_iteratorINS6_10device_ptrIfEEEES8_S8_S8_S8_S8_S8_S8_S8_EEEE15transform_tupleIifEEEPS9_S9_12reduce_tupleIifEEE10hipError_tPvRmT1_T2_T3_mT4_P12ihipStream_tbEUlT_E0_NS1_11comp_targetILNS1_3genE10ELNS1_11target_archE1201ELNS1_3gpuE5ELNS1_3repE0EEENS1_30default_config_static_selectorELNS0_4arch9wavefront6targetE0EEEvSY_: ; @_ZN7rocprim17ROCPRIM_400000_NS6detail17trampoline_kernelINS0_14default_configENS1_22reduce_config_selectorIN6thrust23THRUST_200600_302600_NS5tupleIbffNS6_9null_typeES8_S8_S8_S8_S8_S8_EEEEZNS1_11reduce_implILb1ES3_NS6_11hip_rocprim26transform_input_iterator_tIS9_NS6_12zip_iteratorINS7_INS6_17counting_iteratorIiNS6_11use_defaultESG_SG_EENS6_6detail15normal_iteratorINS6_10device_ptrIfEEEES8_S8_S8_S8_S8_S8_S8_S8_EEEE15transform_tupleIifEEEPS9_S9_12reduce_tupleIifEEE10hipError_tPvRmT1_T2_T3_mT4_P12ihipStream_tbEUlT_E0_NS1_11comp_targetILNS1_3genE10ELNS1_11target_archE1201ELNS1_3gpuE5ELNS1_3repE0EEENS1_30default_config_static_selectorELNS0_4arch9wavefront6targetE0EEEvSY_
; %bb.0:
	.section	.rodata,"a",@progbits
	.p2align	6, 0x0
	.amdhsa_kernel _ZN7rocprim17ROCPRIM_400000_NS6detail17trampoline_kernelINS0_14default_configENS1_22reduce_config_selectorIN6thrust23THRUST_200600_302600_NS5tupleIbffNS6_9null_typeES8_S8_S8_S8_S8_S8_EEEEZNS1_11reduce_implILb1ES3_NS6_11hip_rocprim26transform_input_iterator_tIS9_NS6_12zip_iteratorINS7_INS6_17counting_iteratorIiNS6_11use_defaultESG_SG_EENS6_6detail15normal_iteratorINS6_10device_ptrIfEEEES8_S8_S8_S8_S8_S8_S8_S8_EEEE15transform_tupleIifEEEPS9_S9_12reduce_tupleIifEEE10hipError_tPvRmT1_T2_T3_mT4_P12ihipStream_tbEUlT_E0_NS1_11comp_targetILNS1_3genE10ELNS1_11target_archE1201ELNS1_3gpuE5ELNS1_3repE0EEENS1_30default_config_static_selectorELNS0_4arch9wavefront6targetE0EEEvSY_
		.amdhsa_group_segment_fixed_size 0
		.amdhsa_private_segment_fixed_size 0
		.amdhsa_kernarg_size 80
		.amdhsa_user_sgpr_count 2
		.amdhsa_user_sgpr_dispatch_ptr 0
		.amdhsa_user_sgpr_queue_ptr 0
		.amdhsa_user_sgpr_kernarg_segment_ptr 1
		.amdhsa_user_sgpr_dispatch_id 0
		.amdhsa_user_sgpr_kernarg_preload_length 0
		.amdhsa_user_sgpr_kernarg_preload_offset 0
		.amdhsa_user_sgpr_private_segment_size 0
		.amdhsa_wavefront_size32 1
		.amdhsa_uses_dynamic_stack 0
		.amdhsa_enable_private_segment 0
		.amdhsa_system_sgpr_workgroup_id_x 1
		.amdhsa_system_sgpr_workgroup_id_y 0
		.amdhsa_system_sgpr_workgroup_id_z 0
		.amdhsa_system_sgpr_workgroup_info 0
		.amdhsa_system_vgpr_workitem_id 0
		.amdhsa_next_free_vgpr 1
		.amdhsa_next_free_sgpr 1
		.amdhsa_named_barrier_count 0
		.amdhsa_reserve_vcc 0
		.amdhsa_float_round_mode_32 0
		.amdhsa_float_round_mode_16_64 0
		.amdhsa_float_denorm_mode_32 3
		.amdhsa_float_denorm_mode_16_64 3
		.amdhsa_fp16_overflow 0
		.amdhsa_memory_ordered 1
		.amdhsa_forward_progress 1
		.amdhsa_inst_pref_size 0
		.amdhsa_round_robin_scheduling 0
		.amdhsa_exception_fp_ieee_invalid_op 0
		.amdhsa_exception_fp_denorm_src 0
		.amdhsa_exception_fp_ieee_div_zero 0
		.amdhsa_exception_fp_ieee_overflow 0
		.amdhsa_exception_fp_ieee_underflow 0
		.amdhsa_exception_fp_ieee_inexact 0
		.amdhsa_exception_int_div_zero 0
	.end_amdhsa_kernel
	.section	.text._ZN7rocprim17ROCPRIM_400000_NS6detail17trampoline_kernelINS0_14default_configENS1_22reduce_config_selectorIN6thrust23THRUST_200600_302600_NS5tupleIbffNS6_9null_typeES8_S8_S8_S8_S8_S8_EEEEZNS1_11reduce_implILb1ES3_NS6_11hip_rocprim26transform_input_iterator_tIS9_NS6_12zip_iteratorINS7_INS6_17counting_iteratorIiNS6_11use_defaultESG_SG_EENS6_6detail15normal_iteratorINS6_10device_ptrIfEEEES8_S8_S8_S8_S8_S8_S8_S8_EEEE15transform_tupleIifEEEPS9_S9_12reduce_tupleIifEEE10hipError_tPvRmT1_T2_T3_mT4_P12ihipStream_tbEUlT_E0_NS1_11comp_targetILNS1_3genE10ELNS1_11target_archE1201ELNS1_3gpuE5ELNS1_3repE0EEENS1_30default_config_static_selectorELNS0_4arch9wavefront6targetE0EEEvSY_,"axG",@progbits,_ZN7rocprim17ROCPRIM_400000_NS6detail17trampoline_kernelINS0_14default_configENS1_22reduce_config_selectorIN6thrust23THRUST_200600_302600_NS5tupleIbffNS6_9null_typeES8_S8_S8_S8_S8_S8_EEEEZNS1_11reduce_implILb1ES3_NS6_11hip_rocprim26transform_input_iterator_tIS9_NS6_12zip_iteratorINS7_INS6_17counting_iteratorIiNS6_11use_defaultESG_SG_EENS6_6detail15normal_iteratorINS6_10device_ptrIfEEEES8_S8_S8_S8_S8_S8_S8_S8_EEEE15transform_tupleIifEEEPS9_S9_12reduce_tupleIifEEE10hipError_tPvRmT1_T2_T3_mT4_P12ihipStream_tbEUlT_E0_NS1_11comp_targetILNS1_3genE10ELNS1_11target_archE1201ELNS1_3gpuE5ELNS1_3repE0EEENS1_30default_config_static_selectorELNS0_4arch9wavefront6targetE0EEEvSY_,comdat
.Lfunc_end24:
	.size	_ZN7rocprim17ROCPRIM_400000_NS6detail17trampoline_kernelINS0_14default_configENS1_22reduce_config_selectorIN6thrust23THRUST_200600_302600_NS5tupleIbffNS6_9null_typeES8_S8_S8_S8_S8_S8_EEEEZNS1_11reduce_implILb1ES3_NS6_11hip_rocprim26transform_input_iterator_tIS9_NS6_12zip_iteratorINS7_INS6_17counting_iteratorIiNS6_11use_defaultESG_SG_EENS6_6detail15normal_iteratorINS6_10device_ptrIfEEEES8_S8_S8_S8_S8_S8_S8_S8_EEEE15transform_tupleIifEEEPS9_S9_12reduce_tupleIifEEE10hipError_tPvRmT1_T2_T3_mT4_P12ihipStream_tbEUlT_E0_NS1_11comp_targetILNS1_3genE10ELNS1_11target_archE1201ELNS1_3gpuE5ELNS1_3repE0EEENS1_30default_config_static_selectorELNS0_4arch9wavefront6targetE0EEEvSY_, .Lfunc_end24-_ZN7rocprim17ROCPRIM_400000_NS6detail17trampoline_kernelINS0_14default_configENS1_22reduce_config_selectorIN6thrust23THRUST_200600_302600_NS5tupleIbffNS6_9null_typeES8_S8_S8_S8_S8_S8_EEEEZNS1_11reduce_implILb1ES3_NS6_11hip_rocprim26transform_input_iterator_tIS9_NS6_12zip_iteratorINS7_INS6_17counting_iteratorIiNS6_11use_defaultESG_SG_EENS6_6detail15normal_iteratorINS6_10device_ptrIfEEEES8_S8_S8_S8_S8_S8_S8_S8_EEEE15transform_tupleIifEEEPS9_S9_12reduce_tupleIifEEE10hipError_tPvRmT1_T2_T3_mT4_P12ihipStream_tbEUlT_E0_NS1_11comp_targetILNS1_3genE10ELNS1_11target_archE1201ELNS1_3gpuE5ELNS1_3repE0EEENS1_30default_config_static_selectorELNS0_4arch9wavefront6targetE0EEEvSY_
                                        ; -- End function
	.set _ZN7rocprim17ROCPRIM_400000_NS6detail17trampoline_kernelINS0_14default_configENS1_22reduce_config_selectorIN6thrust23THRUST_200600_302600_NS5tupleIbffNS6_9null_typeES8_S8_S8_S8_S8_S8_EEEEZNS1_11reduce_implILb1ES3_NS6_11hip_rocprim26transform_input_iterator_tIS9_NS6_12zip_iteratorINS7_INS6_17counting_iteratorIiNS6_11use_defaultESG_SG_EENS6_6detail15normal_iteratorINS6_10device_ptrIfEEEES8_S8_S8_S8_S8_S8_S8_S8_EEEE15transform_tupleIifEEEPS9_S9_12reduce_tupleIifEEE10hipError_tPvRmT1_T2_T3_mT4_P12ihipStream_tbEUlT_E0_NS1_11comp_targetILNS1_3genE10ELNS1_11target_archE1201ELNS1_3gpuE5ELNS1_3repE0EEENS1_30default_config_static_selectorELNS0_4arch9wavefront6targetE0EEEvSY_.num_vgpr, 0
	.set _ZN7rocprim17ROCPRIM_400000_NS6detail17trampoline_kernelINS0_14default_configENS1_22reduce_config_selectorIN6thrust23THRUST_200600_302600_NS5tupleIbffNS6_9null_typeES8_S8_S8_S8_S8_S8_EEEEZNS1_11reduce_implILb1ES3_NS6_11hip_rocprim26transform_input_iterator_tIS9_NS6_12zip_iteratorINS7_INS6_17counting_iteratorIiNS6_11use_defaultESG_SG_EENS6_6detail15normal_iteratorINS6_10device_ptrIfEEEES8_S8_S8_S8_S8_S8_S8_S8_EEEE15transform_tupleIifEEEPS9_S9_12reduce_tupleIifEEE10hipError_tPvRmT1_T2_T3_mT4_P12ihipStream_tbEUlT_E0_NS1_11comp_targetILNS1_3genE10ELNS1_11target_archE1201ELNS1_3gpuE5ELNS1_3repE0EEENS1_30default_config_static_selectorELNS0_4arch9wavefront6targetE0EEEvSY_.num_agpr, 0
	.set _ZN7rocprim17ROCPRIM_400000_NS6detail17trampoline_kernelINS0_14default_configENS1_22reduce_config_selectorIN6thrust23THRUST_200600_302600_NS5tupleIbffNS6_9null_typeES8_S8_S8_S8_S8_S8_EEEEZNS1_11reduce_implILb1ES3_NS6_11hip_rocprim26transform_input_iterator_tIS9_NS6_12zip_iteratorINS7_INS6_17counting_iteratorIiNS6_11use_defaultESG_SG_EENS6_6detail15normal_iteratorINS6_10device_ptrIfEEEES8_S8_S8_S8_S8_S8_S8_S8_EEEE15transform_tupleIifEEEPS9_S9_12reduce_tupleIifEEE10hipError_tPvRmT1_T2_T3_mT4_P12ihipStream_tbEUlT_E0_NS1_11comp_targetILNS1_3genE10ELNS1_11target_archE1201ELNS1_3gpuE5ELNS1_3repE0EEENS1_30default_config_static_selectorELNS0_4arch9wavefront6targetE0EEEvSY_.numbered_sgpr, 0
	.set _ZN7rocprim17ROCPRIM_400000_NS6detail17trampoline_kernelINS0_14default_configENS1_22reduce_config_selectorIN6thrust23THRUST_200600_302600_NS5tupleIbffNS6_9null_typeES8_S8_S8_S8_S8_S8_EEEEZNS1_11reduce_implILb1ES3_NS6_11hip_rocprim26transform_input_iterator_tIS9_NS6_12zip_iteratorINS7_INS6_17counting_iteratorIiNS6_11use_defaultESG_SG_EENS6_6detail15normal_iteratorINS6_10device_ptrIfEEEES8_S8_S8_S8_S8_S8_S8_S8_EEEE15transform_tupleIifEEEPS9_S9_12reduce_tupleIifEEE10hipError_tPvRmT1_T2_T3_mT4_P12ihipStream_tbEUlT_E0_NS1_11comp_targetILNS1_3genE10ELNS1_11target_archE1201ELNS1_3gpuE5ELNS1_3repE0EEENS1_30default_config_static_selectorELNS0_4arch9wavefront6targetE0EEEvSY_.num_named_barrier, 0
	.set _ZN7rocprim17ROCPRIM_400000_NS6detail17trampoline_kernelINS0_14default_configENS1_22reduce_config_selectorIN6thrust23THRUST_200600_302600_NS5tupleIbffNS6_9null_typeES8_S8_S8_S8_S8_S8_EEEEZNS1_11reduce_implILb1ES3_NS6_11hip_rocprim26transform_input_iterator_tIS9_NS6_12zip_iteratorINS7_INS6_17counting_iteratorIiNS6_11use_defaultESG_SG_EENS6_6detail15normal_iteratorINS6_10device_ptrIfEEEES8_S8_S8_S8_S8_S8_S8_S8_EEEE15transform_tupleIifEEEPS9_S9_12reduce_tupleIifEEE10hipError_tPvRmT1_T2_T3_mT4_P12ihipStream_tbEUlT_E0_NS1_11comp_targetILNS1_3genE10ELNS1_11target_archE1201ELNS1_3gpuE5ELNS1_3repE0EEENS1_30default_config_static_selectorELNS0_4arch9wavefront6targetE0EEEvSY_.private_seg_size, 0
	.set _ZN7rocprim17ROCPRIM_400000_NS6detail17trampoline_kernelINS0_14default_configENS1_22reduce_config_selectorIN6thrust23THRUST_200600_302600_NS5tupleIbffNS6_9null_typeES8_S8_S8_S8_S8_S8_EEEEZNS1_11reduce_implILb1ES3_NS6_11hip_rocprim26transform_input_iterator_tIS9_NS6_12zip_iteratorINS7_INS6_17counting_iteratorIiNS6_11use_defaultESG_SG_EENS6_6detail15normal_iteratorINS6_10device_ptrIfEEEES8_S8_S8_S8_S8_S8_S8_S8_EEEE15transform_tupleIifEEEPS9_S9_12reduce_tupleIifEEE10hipError_tPvRmT1_T2_T3_mT4_P12ihipStream_tbEUlT_E0_NS1_11comp_targetILNS1_3genE10ELNS1_11target_archE1201ELNS1_3gpuE5ELNS1_3repE0EEENS1_30default_config_static_selectorELNS0_4arch9wavefront6targetE0EEEvSY_.uses_vcc, 0
	.set _ZN7rocprim17ROCPRIM_400000_NS6detail17trampoline_kernelINS0_14default_configENS1_22reduce_config_selectorIN6thrust23THRUST_200600_302600_NS5tupleIbffNS6_9null_typeES8_S8_S8_S8_S8_S8_EEEEZNS1_11reduce_implILb1ES3_NS6_11hip_rocprim26transform_input_iterator_tIS9_NS6_12zip_iteratorINS7_INS6_17counting_iteratorIiNS6_11use_defaultESG_SG_EENS6_6detail15normal_iteratorINS6_10device_ptrIfEEEES8_S8_S8_S8_S8_S8_S8_S8_EEEE15transform_tupleIifEEEPS9_S9_12reduce_tupleIifEEE10hipError_tPvRmT1_T2_T3_mT4_P12ihipStream_tbEUlT_E0_NS1_11comp_targetILNS1_3genE10ELNS1_11target_archE1201ELNS1_3gpuE5ELNS1_3repE0EEENS1_30default_config_static_selectorELNS0_4arch9wavefront6targetE0EEEvSY_.uses_flat_scratch, 0
	.set _ZN7rocprim17ROCPRIM_400000_NS6detail17trampoline_kernelINS0_14default_configENS1_22reduce_config_selectorIN6thrust23THRUST_200600_302600_NS5tupleIbffNS6_9null_typeES8_S8_S8_S8_S8_S8_EEEEZNS1_11reduce_implILb1ES3_NS6_11hip_rocprim26transform_input_iterator_tIS9_NS6_12zip_iteratorINS7_INS6_17counting_iteratorIiNS6_11use_defaultESG_SG_EENS6_6detail15normal_iteratorINS6_10device_ptrIfEEEES8_S8_S8_S8_S8_S8_S8_S8_EEEE15transform_tupleIifEEEPS9_S9_12reduce_tupleIifEEE10hipError_tPvRmT1_T2_T3_mT4_P12ihipStream_tbEUlT_E0_NS1_11comp_targetILNS1_3genE10ELNS1_11target_archE1201ELNS1_3gpuE5ELNS1_3repE0EEENS1_30default_config_static_selectorELNS0_4arch9wavefront6targetE0EEEvSY_.has_dyn_sized_stack, 0
	.set _ZN7rocprim17ROCPRIM_400000_NS6detail17trampoline_kernelINS0_14default_configENS1_22reduce_config_selectorIN6thrust23THRUST_200600_302600_NS5tupleIbffNS6_9null_typeES8_S8_S8_S8_S8_S8_EEEEZNS1_11reduce_implILb1ES3_NS6_11hip_rocprim26transform_input_iterator_tIS9_NS6_12zip_iteratorINS7_INS6_17counting_iteratorIiNS6_11use_defaultESG_SG_EENS6_6detail15normal_iteratorINS6_10device_ptrIfEEEES8_S8_S8_S8_S8_S8_S8_S8_EEEE15transform_tupleIifEEEPS9_S9_12reduce_tupleIifEEE10hipError_tPvRmT1_T2_T3_mT4_P12ihipStream_tbEUlT_E0_NS1_11comp_targetILNS1_3genE10ELNS1_11target_archE1201ELNS1_3gpuE5ELNS1_3repE0EEENS1_30default_config_static_selectorELNS0_4arch9wavefront6targetE0EEEvSY_.has_recursion, 0
	.set _ZN7rocprim17ROCPRIM_400000_NS6detail17trampoline_kernelINS0_14default_configENS1_22reduce_config_selectorIN6thrust23THRUST_200600_302600_NS5tupleIbffNS6_9null_typeES8_S8_S8_S8_S8_S8_EEEEZNS1_11reduce_implILb1ES3_NS6_11hip_rocprim26transform_input_iterator_tIS9_NS6_12zip_iteratorINS7_INS6_17counting_iteratorIiNS6_11use_defaultESG_SG_EENS6_6detail15normal_iteratorINS6_10device_ptrIfEEEES8_S8_S8_S8_S8_S8_S8_S8_EEEE15transform_tupleIifEEEPS9_S9_12reduce_tupleIifEEE10hipError_tPvRmT1_T2_T3_mT4_P12ihipStream_tbEUlT_E0_NS1_11comp_targetILNS1_3genE10ELNS1_11target_archE1201ELNS1_3gpuE5ELNS1_3repE0EEENS1_30default_config_static_selectorELNS0_4arch9wavefront6targetE0EEEvSY_.has_indirect_call, 0
	.section	.AMDGPU.csdata,"",@progbits
; Kernel info:
; codeLenInByte = 0
; TotalNumSgprs: 0
; NumVgprs: 0
; ScratchSize: 0
; MemoryBound: 0
; FloatMode: 240
; IeeeMode: 1
; LDSByteSize: 0 bytes/workgroup (compile time only)
; SGPRBlocks: 0
; VGPRBlocks: 0
; NumSGPRsForWavesPerEU: 1
; NumVGPRsForWavesPerEU: 1
; NamedBarCnt: 0
; Occupancy: 16
; WaveLimiterHint : 0
; COMPUTE_PGM_RSRC2:SCRATCH_EN: 0
; COMPUTE_PGM_RSRC2:USER_SGPR: 2
; COMPUTE_PGM_RSRC2:TRAP_HANDLER: 0
; COMPUTE_PGM_RSRC2:TGID_X_EN: 1
; COMPUTE_PGM_RSRC2:TGID_Y_EN: 0
; COMPUTE_PGM_RSRC2:TGID_Z_EN: 0
; COMPUTE_PGM_RSRC2:TIDIG_COMP_CNT: 0
	.section	.text._ZN7rocprim17ROCPRIM_400000_NS6detail17trampoline_kernelINS0_14default_configENS1_22reduce_config_selectorIN6thrust23THRUST_200600_302600_NS5tupleIbffNS6_9null_typeES8_S8_S8_S8_S8_S8_EEEEZNS1_11reduce_implILb1ES3_NS6_11hip_rocprim26transform_input_iterator_tIS9_NS6_12zip_iteratorINS7_INS6_17counting_iteratorIiNS6_11use_defaultESG_SG_EENS6_6detail15normal_iteratorINS6_10device_ptrIfEEEES8_S8_S8_S8_S8_S8_S8_S8_EEEE15transform_tupleIifEEEPS9_S9_12reduce_tupleIifEEE10hipError_tPvRmT1_T2_T3_mT4_P12ihipStream_tbEUlT_E0_NS1_11comp_targetILNS1_3genE10ELNS1_11target_archE1200ELNS1_3gpuE4ELNS1_3repE0EEENS1_30default_config_static_selectorELNS0_4arch9wavefront6targetE0EEEvSY_,"axG",@progbits,_ZN7rocprim17ROCPRIM_400000_NS6detail17trampoline_kernelINS0_14default_configENS1_22reduce_config_selectorIN6thrust23THRUST_200600_302600_NS5tupleIbffNS6_9null_typeES8_S8_S8_S8_S8_S8_EEEEZNS1_11reduce_implILb1ES3_NS6_11hip_rocprim26transform_input_iterator_tIS9_NS6_12zip_iteratorINS7_INS6_17counting_iteratorIiNS6_11use_defaultESG_SG_EENS6_6detail15normal_iteratorINS6_10device_ptrIfEEEES8_S8_S8_S8_S8_S8_S8_S8_EEEE15transform_tupleIifEEEPS9_S9_12reduce_tupleIifEEE10hipError_tPvRmT1_T2_T3_mT4_P12ihipStream_tbEUlT_E0_NS1_11comp_targetILNS1_3genE10ELNS1_11target_archE1200ELNS1_3gpuE4ELNS1_3repE0EEENS1_30default_config_static_selectorELNS0_4arch9wavefront6targetE0EEEvSY_,comdat
	.protected	_ZN7rocprim17ROCPRIM_400000_NS6detail17trampoline_kernelINS0_14default_configENS1_22reduce_config_selectorIN6thrust23THRUST_200600_302600_NS5tupleIbffNS6_9null_typeES8_S8_S8_S8_S8_S8_EEEEZNS1_11reduce_implILb1ES3_NS6_11hip_rocprim26transform_input_iterator_tIS9_NS6_12zip_iteratorINS7_INS6_17counting_iteratorIiNS6_11use_defaultESG_SG_EENS6_6detail15normal_iteratorINS6_10device_ptrIfEEEES8_S8_S8_S8_S8_S8_S8_S8_EEEE15transform_tupleIifEEEPS9_S9_12reduce_tupleIifEEE10hipError_tPvRmT1_T2_T3_mT4_P12ihipStream_tbEUlT_E0_NS1_11comp_targetILNS1_3genE10ELNS1_11target_archE1200ELNS1_3gpuE4ELNS1_3repE0EEENS1_30default_config_static_selectorELNS0_4arch9wavefront6targetE0EEEvSY_ ; -- Begin function _ZN7rocprim17ROCPRIM_400000_NS6detail17trampoline_kernelINS0_14default_configENS1_22reduce_config_selectorIN6thrust23THRUST_200600_302600_NS5tupleIbffNS6_9null_typeES8_S8_S8_S8_S8_S8_EEEEZNS1_11reduce_implILb1ES3_NS6_11hip_rocprim26transform_input_iterator_tIS9_NS6_12zip_iteratorINS7_INS6_17counting_iteratorIiNS6_11use_defaultESG_SG_EENS6_6detail15normal_iteratorINS6_10device_ptrIfEEEES8_S8_S8_S8_S8_S8_S8_S8_EEEE15transform_tupleIifEEEPS9_S9_12reduce_tupleIifEEE10hipError_tPvRmT1_T2_T3_mT4_P12ihipStream_tbEUlT_E0_NS1_11comp_targetILNS1_3genE10ELNS1_11target_archE1200ELNS1_3gpuE4ELNS1_3repE0EEENS1_30default_config_static_selectorELNS0_4arch9wavefront6targetE0EEEvSY_
	.globl	_ZN7rocprim17ROCPRIM_400000_NS6detail17trampoline_kernelINS0_14default_configENS1_22reduce_config_selectorIN6thrust23THRUST_200600_302600_NS5tupleIbffNS6_9null_typeES8_S8_S8_S8_S8_S8_EEEEZNS1_11reduce_implILb1ES3_NS6_11hip_rocprim26transform_input_iterator_tIS9_NS6_12zip_iteratorINS7_INS6_17counting_iteratorIiNS6_11use_defaultESG_SG_EENS6_6detail15normal_iteratorINS6_10device_ptrIfEEEES8_S8_S8_S8_S8_S8_S8_S8_EEEE15transform_tupleIifEEEPS9_S9_12reduce_tupleIifEEE10hipError_tPvRmT1_T2_T3_mT4_P12ihipStream_tbEUlT_E0_NS1_11comp_targetILNS1_3genE10ELNS1_11target_archE1200ELNS1_3gpuE4ELNS1_3repE0EEENS1_30default_config_static_selectorELNS0_4arch9wavefront6targetE0EEEvSY_
	.p2align	8
	.type	_ZN7rocprim17ROCPRIM_400000_NS6detail17trampoline_kernelINS0_14default_configENS1_22reduce_config_selectorIN6thrust23THRUST_200600_302600_NS5tupleIbffNS6_9null_typeES8_S8_S8_S8_S8_S8_EEEEZNS1_11reduce_implILb1ES3_NS6_11hip_rocprim26transform_input_iterator_tIS9_NS6_12zip_iteratorINS7_INS6_17counting_iteratorIiNS6_11use_defaultESG_SG_EENS6_6detail15normal_iteratorINS6_10device_ptrIfEEEES8_S8_S8_S8_S8_S8_S8_S8_EEEE15transform_tupleIifEEEPS9_S9_12reduce_tupleIifEEE10hipError_tPvRmT1_T2_T3_mT4_P12ihipStream_tbEUlT_E0_NS1_11comp_targetILNS1_3genE10ELNS1_11target_archE1200ELNS1_3gpuE4ELNS1_3repE0EEENS1_30default_config_static_selectorELNS0_4arch9wavefront6targetE0EEEvSY_,@function
_ZN7rocprim17ROCPRIM_400000_NS6detail17trampoline_kernelINS0_14default_configENS1_22reduce_config_selectorIN6thrust23THRUST_200600_302600_NS5tupleIbffNS6_9null_typeES8_S8_S8_S8_S8_S8_EEEEZNS1_11reduce_implILb1ES3_NS6_11hip_rocprim26transform_input_iterator_tIS9_NS6_12zip_iteratorINS7_INS6_17counting_iteratorIiNS6_11use_defaultESG_SG_EENS6_6detail15normal_iteratorINS6_10device_ptrIfEEEES8_S8_S8_S8_S8_S8_S8_S8_EEEE15transform_tupleIifEEEPS9_S9_12reduce_tupleIifEEE10hipError_tPvRmT1_T2_T3_mT4_P12ihipStream_tbEUlT_E0_NS1_11comp_targetILNS1_3genE10ELNS1_11target_archE1200ELNS1_3gpuE4ELNS1_3repE0EEENS1_30default_config_static_selectorELNS0_4arch9wavefront6targetE0EEEvSY_: ; @_ZN7rocprim17ROCPRIM_400000_NS6detail17trampoline_kernelINS0_14default_configENS1_22reduce_config_selectorIN6thrust23THRUST_200600_302600_NS5tupleIbffNS6_9null_typeES8_S8_S8_S8_S8_S8_EEEEZNS1_11reduce_implILb1ES3_NS6_11hip_rocprim26transform_input_iterator_tIS9_NS6_12zip_iteratorINS7_INS6_17counting_iteratorIiNS6_11use_defaultESG_SG_EENS6_6detail15normal_iteratorINS6_10device_ptrIfEEEES8_S8_S8_S8_S8_S8_S8_S8_EEEE15transform_tupleIifEEEPS9_S9_12reduce_tupleIifEEE10hipError_tPvRmT1_T2_T3_mT4_P12ihipStream_tbEUlT_E0_NS1_11comp_targetILNS1_3genE10ELNS1_11target_archE1200ELNS1_3gpuE4ELNS1_3repE0EEENS1_30default_config_static_selectorELNS0_4arch9wavefront6targetE0EEEvSY_
; %bb.0:
	.section	.rodata,"a",@progbits
	.p2align	6, 0x0
	.amdhsa_kernel _ZN7rocprim17ROCPRIM_400000_NS6detail17trampoline_kernelINS0_14default_configENS1_22reduce_config_selectorIN6thrust23THRUST_200600_302600_NS5tupleIbffNS6_9null_typeES8_S8_S8_S8_S8_S8_EEEEZNS1_11reduce_implILb1ES3_NS6_11hip_rocprim26transform_input_iterator_tIS9_NS6_12zip_iteratorINS7_INS6_17counting_iteratorIiNS6_11use_defaultESG_SG_EENS6_6detail15normal_iteratorINS6_10device_ptrIfEEEES8_S8_S8_S8_S8_S8_S8_S8_EEEE15transform_tupleIifEEEPS9_S9_12reduce_tupleIifEEE10hipError_tPvRmT1_T2_T3_mT4_P12ihipStream_tbEUlT_E0_NS1_11comp_targetILNS1_3genE10ELNS1_11target_archE1200ELNS1_3gpuE4ELNS1_3repE0EEENS1_30default_config_static_selectorELNS0_4arch9wavefront6targetE0EEEvSY_
		.amdhsa_group_segment_fixed_size 0
		.amdhsa_private_segment_fixed_size 0
		.amdhsa_kernarg_size 80
		.amdhsa_user_sgpr_count 2
		.amdhsa_user_sgpr_dispatch_ptr 0
		.amdhsa_user_sgpr_queue_ptr 0
		.amdhsa_user_sgpr_kernarg_segment_ptr 1
		.amdhsa_user_sgpr_dispatch_id 0
		.amdhsa_user_sgpr_kernarg_preload_length 0
		.amdhsa_user_sgpr_kernarg_preload_offset 0
		.amdhsa_user_sgpr_private_segment_size 0
		.amdhsa_wavefront_size32 1
		.amdhsa_uses_dynamic_stack 0
		.amdhsa_enable_private_segment 0
		.amdhsa_system_sgpr_workgroup_id_x 1
		.amdhsa_system_sgpr_workgroup_id_y 0
		.amdhsa_system_sgpr_workgroup_id_z 0
		.amdhsa_system_sgpr_workgroup_info 0
		.amdhsa_system_vgpr_workitem_id 0
		.amdhsa_next_free_vgpr 1
		.amdhsa_next_free_sgpr 1
		.amdhsa_named_barrier_count 0
		.amdhsa_reserve_vcc 0
		.amdhsa_float_round_mode_32 0
		.amdhsa_float_round_mode_16_64 0
		.amdhsa_float_denorm_mode_32 3
		.amdhsa_float_denorm_mode_16_64 3
		.amdhsa_fp16_overflow 0
		.amdhsa_memory_ordered 1
		.amdhsa_forward_progress 1
		.amdhsa_inst_pref_size 0
		.amdhsa_round_robin_scheduling 0
		.amdhsa_exception_fp_ieee_invalid_op 0
		.amdhsa_exception_fp_denorm_src 0
		.amdhsa_exception_fp_ieee_div_zero 0
		.amdhsa_exception_fp_ieee_overflow 0
		.amdhsa_exception_fp_ieee_underflow 0
		.amdhsa_exception_fp_ieee_inexact 0
		.amdhsa_exception_int_div_zero 0
	.end_amdhsa_kernel
	.section	.text._ZN7rocprim17ROCPRIM_400000_NS6detail17trampoline_kernelINS0_14default_configENS1_22reduce_config_selectorIN6thrust23THRUST_200600_302600_NS5tupleIbffNS6_9null_typeES8_S8_S8_S8_S8_S8_EEEEZNS1_11reduce_implILb1ES3_NS6_11hip_rocprim26transform_input_iterator_tIS9_NS6_12zip_iteratorINS7_INS6_17counting_iteratorIiNS6_11use_defaultESG_SG_EENS6_6detail15normal_iteratorINS6_10device_ptrIfEEEES8_S8_S8_S8_S8_S8_S8_S8_EEEE15transform_tupleIifEEEPS9_S9_12reduce_tupleIifEEE10hipError_tPvRmT1_T2_T3_mT4_P12ihipStream_tbEUlT_E0_NS1_11comp_targetILNS1_3genE10ELNS1_11target_archE1200ELNS1_3gpuE4ELNS1_3repE0EEENS1_30default_config_static_selectorELNS0_4arch9wavefront6targetE0EEEvSY_,"axG",@progbits,_ZN7rocprim17ROCPRIM_400000_NS6detail17trampoline_kernelINS0_14default_configENS1_22reduce_config_selectorIN6thrust23THRUST_200600_302600_NS5tupleIbffNS6_9null_typeES8_S8_S8_S8_S8_S8_EEEEZNS1_11reduce_implILb1ES3_NS6_11hip_rocprim26transform_input_iterator_tIS9_NS6_12zip_iteratorINS7_INS6_17counting_iteratorIiNS6_11use_defaultESG_SG_EENS6_6detail15normal_iteratorINS6_10device_ptrIfEEEES8_S8_S8_S8_S8_S8_S8_S8_EEEE15transform_tupleIifEEEPS9_S9_12reduce_tupleIifEEE10hipError_tPvRmT1_T2_T3_mT4_P12ihipStream_tbEUlT_E0_NS1_11comp_targetILNS1_3genE10ELNS1_11target_archE1200ELNS1_3gpuE4ELNS1_3repE0EEENS1_30default_config_static_selectorELNS0_4arch9wavefront6targetE0EEEvSY_,comdat
.Lfunc_end25:
	.size	_ZN7rocprim17ROCPRIM_400000_NS6detail17trampoline_kernelINS0_14default_configENS1_22reduce_config_selectorIN6thrust23THRUST_200600_302600_NS5tupleIbffNS6_9null_typeES8_S8_S8_S8_S8_S8_EEEEZNS1_11reduce_implILb1ES3_NS6_11hip_rocprim26transform_input_iterator_tIS9_NS6_12zip_iteratorINS7_INS6_17counting_iteratorIiNS6_11use_defaultESG_SG_EENS6_6detail15normal_iteratorINS6_10device_ptrIfEEEES8_S8_S8_S8_S8_S8_S8_S8_EEEE15transform_tupleIifEEEPS9_S9_12reduce_tupleIifEEE10hipError_tPvRmT1_T2_T3_mT4_P12ihipStream_tbEUlT_E0_NS1_11comp_targetILNS1_3genE10ELNS1_11target_archE1200ELNS1_3gpuE4ELNS1_3repE0EEENS1_30default_config_static_selectorELNS0_4arch9wavefront6targetE0EEEvSY_, .Lfunc_end25-_ZN7rocprim17ROCPRIM_400000_NS6detail17trampoline_kernelINS0_14default_configENS1_22reduce_config_selectorIN6thrust23THRUST_200600_302600_NS5tupleIbffNS6_9null_typeES8_S8_S8_S8_S8_S8_EEEEZNS1_11reduce_implILb1ES3_NS6_11hip_rocprim26transform_input_iterator_tIS9_NS6_12zip_iteratorINS7_INS6_17counting_iteratorIiNS6_11use_defaultESG_SG_EENS6_6detail15normal_iteratorINS6_10device_ptrIfEEEES8_S8_S8_S8_S8_S8_S8_S8_EEEE15transform_tupleIifEEEPS9_S9_12reduce_tupleIifEEE10hipError_tPvRmT1_T2_T3_mT4_P12ihipStream_tbEUlT_E0_NS1_11comp_targetILNS1_3genE10ELNS1_11target_archE1200ELNS1_3gpuE4ELNS1_3repE0EEENS1_30default_config_static_selectorELNS0_4arch9wavefront6targetE0EEEvSY_
                                        ; -- End function
	.set _ZN7rocprim17ROCPRIM_400000_NS6detail17trampoline_kernelINS0_14default_configENS1_22reduce_config_selectorIN6thrust23THRUST_200600_302600_NS5tupleIbffNS6_9null_typeES8_S8_S8_S8_S8_S8_EEEEZNS1_11reduce_implILb1ES3_NS6_11hip_rocprim26transform_input_iterator_tIS9_NS6_12zip_iteratorINS7_INS6_17counting_iteratorIiNS6_11use_defaultESG_SG_EENS6_6detail15normal_iteratorINS6_10device_ptrIfEEEES8_S8_S8_S8_S8_S8_S8_S8_EEEE15transform_tupleIifEEEPS9_S9_12reduce_tupleIifEEE10hipError_tPvRmT1_T2_T3_mT4_P12ihipStream_tbEUlT_E0_NS1_11comp_targetILNS1_3genE10ELNS1_11target_archE1200ELNS1_3gpuE4ELNS1_3repE0EEENS1_30default_config_static_selectorELNS0_4arch9wavefront6targetE0EEEvSY_.num_vgpr, 0
	.set _ZN7rocprim17ROCPRIM_400000_NS6detail17trampoline_kernelINS0_14default_configENS1_22reduce_config_selectorIN6thrust23THRUST_200600_302600_NS5tupleIbffNS6_9null_typeES8_S8_S8_S8_S8_S8_EEEEZNS1_11reduce_implILb1ES3_NS6_11hip_rocprim26transform_input_iterator_tIS9_NS6_12zip_iteratorINS7_INS6_17counting_iteratorIiNS6_11use_defaultESG_SG_EENS6_6detail15normal_iteratorINS6_10device_ptrIfEEEES8_S8_S8_S8_S8_S8_S8_S8_EEEE15transform_tupleIifEEEPS9_S9_12reduce_tupleIifEEE10hipError_tPvRmT1_T2_T3_mT4_P12ihipStream_tbEUlT_E0_NS1_11comp_targetILNS1_3genE10ELNS1_11target_archE1200ELNS1_3gpuE4ELNS1_3repE0EEENS1_30default_config_static_selectorELNS0_4arch9wavefront6targetE0EEEvSY_.num_agpr, 0
	.set _ZN7rocprim17ROCPRIM_400000_NS6detail17trampoline_kernelINS0_14default_configENS1_22reduce_config_selectorIN6thrust23THRUST_200600_302600_NS5tupleIbffNS6_9null_typeES8_S8_S8_S8_S8_S8_EEEEZNS1_11reduce_implILb1ES3_NS6_11hip_rocprim26transform_input_iterator_tIS9_NS6_12zip_iteratorINS7_INS6_17counting_iteratorIiNS6_11use_defaultESG_SG_EENS6_6detail15normal_iteratorINS6_10device_ptrIfEEEES8_S8_S8_S8_S8_S8_S8_S8_EEEE15transform_tupleIifEEEPS9_S9_12reduce_tupleIifEEE10hipError_tPvRmT1_T2_T3_mT4_P12ihipStream_tbEUlT_E0_NS1_11comp_targetILNS1_3genE10ELNS1_11target_archE1200ELNS1_3gpuE4ELNS1_3repE0EEENS1_30default_config_static_selectorELNS0_4arch9wavefront6targetE0EEEvSY_.numbered_sgpr, 0
	.set _ZN7rocprim17ROCPRIM_400000_NS6detail17trampoline_kernelINS0_14default_configENS1_22reduce_config_selectorIN6thrust23THRUST_200600_302600_NS5tupleIbffNS6_9null_typeES8_S8_S8_S8_S8_S8_EEEEZNS1_11reduce_implILb1ES3_NS6_11hip_rocprim26transform_input_iterator_tIS9_NS6_12zip_iteratorINS7_INS6_17counting_iteratorIiNS6_11use_defaultESG_SG_EENS6_6detail15normal_iteratorINS6_10device_ptrIfEEEES8_S8_S8_S8_S8_S8_S8_S8_EEEE15transform_tupleIifEEEPS9_S9_12reduce_tupleIifEEE10hipError_tPvRmT1_T2_T3_mT4_P12ihipStream_tbEUlT_E0_NS1_11comp_targetILNS1_3genE10ELNS1_11target_archE1200ELNS1_3gpuE4ELNS1_3repE0EEENS1_30default_config_static_selectorELNS0_4arch9wavefront6targetE0EEEvSY_.num_named_barrier, 0
	.set _ZN7rocprim17ROCPRIM_400000_NS6detail17trampoline_kernelINS0_14default_configENS1_22reduce_config_selectorIN6thrust23THRUST_200600_302600_NS5tupleIbffNS6_9null_typeES8_S8_S8_S8_S8_S8_EEEEZNS1_11reduce_implILb1ES3_NS6_11hip_rocprim26transform_input_iterator_tIS9_NS6_12zip_iteratorINS7_INS6_17counting_iteratorIiNS6_11use_defaultESG_SG_EENS6_6detail15normal_iteratorINS6_10device_ptrIfEEEES8_S8_S8_S8_S8_S8_S8_S8_EEEE15transform_tupleIifEEEPS9_S9_12reduce_tupleIifEEE10hipError_tPvRmT1_T2_T3_mT4_P12ihipStream_tbEUlT_E0_NS1_11comp_targetILNS1_3genE10ELNS1_11target_archE1200ELNS1_3gpuE4ELNS1_3repE0EEENS1_30default_config_static_selectorELNS0_4arch9wavefront6targetE0EEEvSY_.private_seg_size, 0
	.set _ZN7rocprim17ROCPRIM_400000_NS6detail17trampoline_kernelINS0_14default_configENS1_22reduce_config_selectorIN6thrust23THRUST_200600_302600_NS5tupleIbffNS6_9null_typeES8_S8_S8_S8_S8_S8_EEEEZNS1_11reduce_implILb1ES3_NS6_11hip_rocprim26transform_input_iterator_tIS9_NS6_12zip_iteratorINS7_INS6_17counting_iteratorIiNS6_11use_defaultESG_SG_EENS6_6detail15normal_iteratorINS6_10device_ptrIfEEEES8_S8_S8_S8_S8_S8_S8_S8_EEEE15transform_tupleIifEEEPS9_S9_12reduce_tupleIifEEE10hipError_tPvRmT1_T2_T3_mT4_P12ihipStream_tbEUlT_E0_NS1_11comp_targetILNS1_3genE10ELNS1_11target_archE1200ELNS1_3gpuE4ELNS1_3repE0EEENS1_30default_config_static_selectorELNS0_4arch9wavefront6targetE0EEEvSY_.uses_vcc, 0
	.set _ZN7rocprim17ROCPRIM_400000_NS6detail17trampoline_kernelINS0_14default_configENS1_22reduce_config_selectorIN6thrust23THRUST_200600_302600_NS5tupleIbffNS6_9null_typeES8_S8_S8_S8_S8_S8_EEEEZNS1_11reduce_implILb1ES3_NS6_11hip_rocprim26transform_input_iterator_tIS9_NS6_12zip_iteratorINS7_INS6_17counting_iteratorIiNS6_11use_defaultESG_SG_EENS6_6detail15normal_iteratorINS6_10device_ptrIfEEEES8_S8_S8_S8_S8_S8_S8_S8_EEEE15transform_tupleIifEEEPS9_S9_12reduce_tupleIifEEE10hipError_tPvRmT1_T2_T3_mT4_P12ihipStream_tbEUlT_E0_NS1_11comp_targetILNS1_3genE10ELNS1_11target_archE1200ELNS1_3gpuE4ELNS1_3repE0EEENS1_30default_config_static_selectorELNS0_4arch9wavefront6targetE0EEEvSY_.uses_flat_scratch, 0
	.set _ZN7rocprim17ROCPRIM_400000_NS6detail17trampoline_kernelINS0_14default_configENS1_22reduce_config_selectorIN6thrust23THRUST_200600_302600_NS5tupleIbffNS6_9null_typeES8_S8_S8_S8_S8_S8_EEEEZNS1_11reduce_implILb1ES3_NS6_11hip_rocprim26transform_input_iterator_tIS9_NS6_12zip_iteratorINS7_INS6_17counting_iteratorIiNS6_11use_defaultESG_SG_EENS6_6detail15normal_iteratorINS6_10device_ptrIfEEEES8_S8_S8_S8_S8_S8_S8_S8_EEEE15transform_tupleIifEEEPS9_S9_12reduce_tupleIifEEE10hipError_tPvRmT1_T2_T3_mT4_P12ihipStream_tbEUlT_E0_NS1_11comp_targetILNS1_3genE10ELNS1_11target_archE1200ELNS1_3gpuE4ELNS1_3repE0EEENS1_30default_config_static_selectorELNS0_4arch9wavefront6targetE0EEEvSY_.has_dyn_sized_stack, 0
	.set _ZN7rocprim17ROCPRIM_400000_NS6detail17trampoline_kernelINS0_14default_configENS1_22reduce_config_selectorIN6thrust23THRUST_200600_302600_NS5tupleIbffNS6_9null_typeES8_S8_S8_S8_S8_S8_EEEEZNS1_11reduce_implILb1ES3_NS6_11hip_rocprim26transform_input_iterator_tIS9_NS6_12zip_iteratorINS7_INS6_17counting_iteratorIiNS6_11use_defaultESG_SG_EENS6_6detail15normal_iteratorINS6_10device_ptrIfEEEES8_S8_S8_S8_S8_S8_S8_S8_EEEE15transform_tupleIifEEEPS9_S9_12reduce_tupleIifEEE10hipError_tPvRmT1_T2_T3_mT4_P12ihipStream_tbEUlT_E0_NS1_11comp_targetILNS1_3genE10ELNS1_11target_archE1200ELNS1_3gpuE4ELNS1_3repE0EEENS1_30default_config_static_selectorELNS0_4arch9wavefront6targetE0EEEvSY_.has_recursion, 0
	.set _ZN7rocprim17ROCPRIM_400000_NS6detail17trampoline_kernelINS0_14default_configENS1_22reduce_config_selectorIN6thrust23THRUST_200600_302600_NS5tupleIbffNS6_9null_typeES8_S8_S8_S8_S8_S8_EEEEZNS1_11reduce_implILb1ES3_NS6_11hip_rocprim26transform_input_iterator_tIS9_NS6_12zip_iteratorINS7_INS6_17counting_iteratorIiNS6_11use_defaultESG_SG_EENS6_6detail15normal_iteratorINS6_10device_ptrIfEEEES8_S8_S8_S8_S8_S8_S8_S8_EEEE15transform_tupleIifEEEPS9_S9_12reduce_tupleIifEEE10hipError_tPvRmT1_T2_T3_mT4_P12ihipStream_tbEUlT_E0_NS1_11comp_targetILNS1_3genE10ELNS1_11target_archE1200ELNS1_3gpuE4ELNS1_3repE0EEENS1_30default_config_static_selectorELNS0_4arch9wavefront6targetE0EEEvSY_.has_indirect_call, 0
	.section	.AMDGPU.csdata,"",@progbits
; Kernel info:
; codeLenInByte = 0
; TotalNumSgprs: 0
; NumVgprs: 0
; ScratchSize: 0
; MemoryBound: 0
; FloatMode: 240
; IeeeMode: 1
; LDSByteSize: 0 bytes/workgroup (compile time only)
; SGPRBlocks: 0
; VGPRBlocks: 0
; NumSGPRsForWavesPerEU: 1
; NumVGPRsForWavesPerEU: 1
; NamedBarCnt: 0
; Occupancy: 16
; WaveLimiterHint : 0
; COMPUTE_PGM_RSRC2:SCRATCH_EN: 0
; COMPUTE_PGM_RSRC2:USER_SGPR: 2
; COMPUTE_PGM_RSRC2:TRAP_HANDLER: 0
; COMPUTE_PGM_RSRC2:TGID_X_EN: 1
; COMPUTE_PGM_RSRC2:TGID_Y_EN: 0
; COMPUTE_PGM_RSRC2:TGID_Z_EN: 0
; COMPUTE_PGM_RSRC2:TIDIG_COMP_CNT: 0
	.section	.text._ZN7rocprim17ROCPRIM_400000_NS6detail17trampoline_kernelINS0_14default_configENS1_22reduce_config_selectorIN6thrust23THRUST_200600_302600_NS5tupleIbffNS6_9null_typeES8_S8_S8_S8_S8_S8_EEEEZNS1_11reduce_implILb1ES3_NS6_11hip_rocprim26transform_input_iterator_tIS9_NS6_12zip_iteratorINS7_INS6_17counting_iteratorIiNS6_11use_defaultESG_SG_EENS6_6detail15normal_iteratorINS6_10device_ptrIfEEEES8_S8_S8_S8_S8_S8_S8_S8_EEEE15transform_tupleIifEEEPS9_S9_12reduce_tupleIifEEE10hipError_tPvRmT1_T2_T3_mT4_P12ihipStream_tbEUlT_E0_NS1_11comp_targetILNS1_3genE9ELNS1_11target_archE1100ELNS1_3gpuE3ELNS1_3repE0EEENS1_30default_config_static_selectorELNS0_4arch9wavefront6targetE0EEEvSY_,"axG",@progbits,_ZN7rocprim17ROCPRIM_400000_NS6detail17trampoline_kernelINS0_14default_configENS1_22reduce_config_selectorIN6thrust23THRUST_200600_302600_NS5tupleIbffNS6_9null_typeES8_S8_S8_S8_S8_S8_EEEEZNS1_11reduce_implILb1ES3_NS6_11hip_rocprim26transform_input_iterator_tIS9_NS6_12zip_iteratorINS7_INS6_17counting_iteratorIiNS6_11use_defaultESG_SG_EENS6_6detail15normal_iteratorINS6_10device_ptrIfEEEES8_S8_S8_S8_S8_S8_S8_S8_EEEE15transform_tupleIifEEEPS9_S9_12reduce_tupleIifEEE10hipError_tPvRmT1_T2_T3_mT4_P12ihipStream_tbEUlT_E0_NS1_11comp_targetILNS1_3genE9ELNS1_11target_archE1100ELNS1_3gpuE3ELNS1_3repE0EEENS1_30default_config_static_selectorELNS0_4arch9wavefront6targetE0EEEvSY_,comdat
	.protected	_ZN7rocprim17ROCPRIM_400000_NS6detail17trampoline_kernelINS0_14default_configENS1_22reduce_config_selectorIN6thrust23THRUST_200600_302600_NS5tupleIbffNS6_9null_typeES8_S8_S8_S8_S8_S8_EEEEZNS1_11reduce_implILb1ES3_NS6_11hip_rocprim26transform_input_iterator_tIS9_NS6_12zip_iteratorINS7_INS6_17counting_iteratorIiNS6_11use_defaultESG_SG_EENS6_6detail15normal_iteratorINS6_10device_ptrIfEEEES8_S8_S8_S8_S8_S8_S8_S8_EEEE15transform_tupleIifEEEPS9_S9_12reduce_tupleIifEEE10hipError_tPvRmT1_T2_T3_mT4_P12ihipStream_tbEUlT_E0_NS1_11comp_targetILNS1_3genE9ELNS1_11target_archE1100ELNS1_3gpuE3ELNS1_3repE0EEENS1_30default_config_static_selectorELNS0_4arch9wavefront6targetE0EEEvSY_ ; -- Begin function _ZN7rocprim17ROCPRIM_400000_NS6detail17trampoline_kernelINS0_14default_configENS1_22reduce_config_selectorIN6thrust23THRUST_200600_302600_NS5tupleIbffNS6_9null_typeES8_S8_S8_S8_S8_S8_EEEEZNS1_11reduce_implILb1ES3_NS6_11hip_rocprim26transform_input_iterator_tIS9_NS6_12zip_iteratorINS7_INS6_17counting_iteratorIiNS6_11use_defaultESG_SG_EENS6_6detail15normal_iteratorINS6_10device_ptrIfEEEES8_S8_S8_S8_S8_S8_S8_S8_EEEE15transform_tupleIifEEEPS9_S9_12reduce_tupleIifEEE10hipError_tPvRmT1_T2_T3_mT4_P12ihipStream_tbEUlT_E0_NS1_11comp_targetILNS1_3genE9ELNS1_11target_archE1100ELNS1_3gpuE3ELNS1_3repE0EEENS1_30default_config_static_selectorELNS0_4arch9wavefront6targetE0EEEvSY_
	.globl	_ZN7rocprim17ROCPRIM_400000_NS6detail17trampoline_kernelINS0_14default_configENS1_22reduce_config_selectorIN6thrust23THRUST_200600_302600_NS5tupleIbffNS6_9null_typeES8_S8_S8_S8_S8_S8_EEEEZNS1_11reduce_implILb1ES3_NS6_11hip_rocprim26transform_input_iterator_tIS9_NS6_12zip_iteratorINS7_INS6_17counting_iteratorIiNS6_11use_defaultESG_SG_EENS6_6detail15normal_iteratorINS6_10device_ptrIfEEEES8_S8_S8_S8_S8_S8_S8_S8_EEEE15transform_tupleIifEEEPS9_S9_12reduce_tupleIifEEE10hipError_tPvRmT1_T2_T3_mT4_P12ihipStream_tbEUlT_E0_NS1_11comp_targetILNS1_3genE9ELNS1_11target_archE1100ELNS1_3gpuE3ELNS1_3repE0EEENS1_30default_config_static_selectorELNS0_4arch9wavefront6targetE0EEEvSY_
	.p2align	8
	.type	_ZN7rocprim17ROCPRIM_400000_NS6detail17trampoline_kernelINS0_14default_configENS1_22reduce_config_selectorIN6thrust23THRUST_200600_302600_NS5tupleIbffNS6_9null_typeES8_S8_S8_S8_S8_S8_EEEEZNS1_11reduce_implILb1ES3_NS6_11hip_rocprim26transform_input_iterator_tIS9_NS6_12zip_iteratorINS7_INS6_17counting_iteratorIiNS6_11use_defaultESG_SG_EENS6_6detail15normal_iteratorINS6_10device_ptrIfEEEES8_S8_S8_S8_S8_S8_S8_S8_EEEE15transform_tupleIifEEEPS9_S9_12reduce_tupleIifEEE10hipError_tPvRmT1_T2_T3_mT4_P12ihipStream_tbEUlT_E0_NS1_11comp_targetILNS1_3genE9ELNS1_11target_archE1100ELNS1_3gpuE3ELNS1_3repE0EEENS1_30default_config_static_selectorELNS0_4arch9wavefront6targetE0EEEvSY_,@function
_ZN7rocprim17ROCPRIM_400000_NS6detail17trampoline_kernelINS0_14default_configENS1_22reduce_config_selectorIN6thrust23THRUST_200600_302600_NS5tupleIbffNS6_9null_typeES8_S8_S8_S8_S8_S8_EEEEZNS1_11reduce_implILb1ES3_NS6_11hip_rocprim26transform_input_iterator_tIS9_NS6_12zip_iteratorINS7_INS6_17counting_iteratorIiNS6_11use_defaultESG_SG_EENS6_6detail15normal_iteratorINS6_10device_ptrIfEEEES8_S8_S8_S8_S8_S8_S8_S8_EEEE15transform_tupleIifEEEPS9_S9_12reduce_tupleIifEEE10hipError_tPvRmT1_T2_T3_mT4_P12ihipStream_tbEUlT_E0_NS1_11comp_targetILNS1_3genE9ELNS1_11target_archE1100ELNS1_3gpuE3ELNS1_3repE0EEENS1_30default_config_static_selectorELNS0_4arch9wavefront6targetE0EEEvSY_: ; @_ZN7rocprim17ROCPRIM_400000_NS6detail17trampoline_kernelINS0_14default_configENS1_22reduce_config_selectorIN6thrust23THRUST_200600_302600_NS5tupleIbffNS6_9null_typeES8_S8_S8_S8_S8_S8_EEEEZNS1_11reduce_implILb1ES3_NS6_11hip_rocprim26transform_input_iterator_tIS9_NS6_12zip_iteratorINS7_INS6_17counting_iteratorIiNS6_11use_defaultESG_SG_EENS6_6detail15normal_iteratorINS6_10device_ptrIfEEEES8_S8_S8_S8_S8_S8_S8_S8_EEEE15transform_tupleIifEEEPS9_S9_12reduce_tupleIifEEE10hipError_tPvRmT1_T2_T3_mT4_P12ihipStream_tbEUlT_E0_NS1_11comp_targetILNS1_3genE9ELNS1_11target_archE1100ELNS1_3gpuE3ELNS1_3repE0EEENS1_30default_config_static_selectorELNS0_4arch9wavefront6targetE0EEEvSY_
; %bb.0:
	.section	.rodata,"a",@progbits
	.p2align	6, 0x0
	.amdhsa_kernel _ZN7rocprim17ROCPRIM_400000_NS6detail17trampoline_kernelINS0_14default_configENS1_22reduce_config_selectorIN6thrust23THRUST_200600_302600_NS5tupleIbffNS6_9null_typeES8_S8_S8_S8_S8_S8_EEEEZNS1_11reduce_implILb1ES3_NS6_11hip_rocprim26transform_input_iterator_tIS9_NS6_12zip_iteratorINS7_INS6_17counting_iteratorIiNS6_11use_defaultESG_SG_EENS6_6detail15normal_iteratorINS6_10device_ptrIfEEEES8_S8_S8_S8_S8_S8_S8_S8_EEEE15transform_tupleIifEEEPS9_S9_12reduce_tupleIifEEE10hipError_tPvRmT1_T2_T3_mT4_P12ihipStream_tbEUlT_E0_NS1_11comp_targetILNS1_3genE9ELNS1_11target_archE1100ELNS1_3gpuE3ELNS1_3repE0EEENS1_30default_config_static_selectorELNS0_4arch9wavefront6targetE0EEEvSY_
		.amdhsa_group_segment_fixed_size 0
		.amdhsa_private_segment_fixed_size 0
		.amdhsa_kernarg_size 80
		.amdhsa_user_sgpr_count 2
		.amdhsa_user_sgpr_dispatch_ptr 0
		.amdhsa_user_sgpr_queue_ptr 0
		.amdhsa_user_sgpr_kernarg_segment_ptr 1
		.amdhsa_user_sgpr_dispatch_id 0
		.amdhsa_user_sgpr_kernarg_preload_length 0
		.amdhsa_user_sgpr_kernarg_preload_offset 0
		.amdhsa_user_sgpr_private_segment_size 0
		.amdhsa_wavefront_size32 1
		.amdhsa_uses_dynamic_stack 0
		.amdhsa_enable_private_segment 0
		.amdhsa_system_sgpr_workgroup_id_x 1
		.amdhsa_system_sgpr_workgroup_id_y 0
		.amdhsa_system_sgpr_workgroup_id_z 0
		.amdhsa_system_sgpr_workgroup_info 0
		.amdhsa_system_vgpr_workitem_id 0
		.amdhsa_next_free_vgpr 1
		.amdhsa_next_free_sgpr 1
		.amdhsa_named_barrier_count 0
		.amdhsa_reserve_vcc 0
		.amdhsa_float_round_mode_32 0
		.amdhsa_float_round_mode_16_64 0
		.amdhsa_float_denorm_mode_32 3
		.amdhsa_float_denorm_mode_16_64 3
		.amdhsa_fp16_overflow 0
		.amdhsa_memory_ordered 1
		.amdhsa_forward_progress 1
		.amdhsa_inst_pref_size 0
		.amdhsa_round_robin_scheduling 0
		.amdhsa_exception_fp_ieee_invalid_op 0
		.amdhsa_exception_fp_denorm_src 0
		.amdhsa_exception_fp_ieee_div_zero 0
		.amdhsa_exception_fp_ieee_overflow 0
		.amdhsa_exception_fp_ieee_underflow 0
		.amdhsa_exception_fp_ieee_inexact 0
		.amdhsa_exception_int_div_zero 0
	.end_amdhsa_kernel
	.section	.text._ZN7rocprim17ROCPRIM_400000_NS6detail17trampoline_kernelINS0_14default_configENS1_22reduce_config_selectorIN6thrust23THRUST_200600_302600_NS5tupleIbffNS6_9null_typeES8_S8_S8_S8_S8_S8_EEEEZNS1_11reduce_implILb1ES3_NS6_11hip_rocprim26transform_input_iterator_tIS9_NS6_12zip_iteratorINS7_INS6_17counting_iteratorIiNS6_11use_defaultESG_SG_EENS6_6detail15normal_iteratorINS6_10device_ptrIfEEEES8_S8_S8_S8_S8_S8_S8_S8_EEEE15transform_tupleIifEEEPS9_S9_12reduce_tupleIifEEE10hipError_tPvRmT1_T2_T3_mT4_P12ihipStream_tbEUlT_E0_NS1_11comp_targetILNS1_3genE9ELNS1_11target_archE1100ELNS1_3gpuE3ELNS1_3repE0EEENS1_30default_config_static_selectorELNS0_4arch9wavefront6targetE0EEEvSY_,"axG",@progbits,_ZN7rocprim17ROCPRIM_400000_NS6detail17trampoline_kernelINS0_14default_configENS1_22reduce_config_selectorIN6thrust23THRUST_200600_302600_NS5tupleIbffNS6_9null_typeES8_S8_S8_S8_S8_S8_EEEEZNS1_11reduce_implILb1ES3_NS6_11hip_rocprim26transform_input_iterator_tIS9_NS6_12zip_iteratorINS7_INS6_17counting_iteratorIiNS6_11use_defaultESG_SG_EENS6_6detail15normal_iteratorINS6_10device_ptrIfEEEES8_S8_S8_S8_S8_S8_S8_S8_EEEE15transform_tupleIifEEEPS9_S9_12reduce_tupleIifEEE10hipError_tPvRmT1_T2_T3_mT4_P12ihipStream_tbEUlT_E0_NS1_11comp_targetILNS1_3genE9ELNS1_11target_archE1100ELNS1_3gpuE3ELNS1_3repE0EEENS1_30default_config_static_selectorELNS0_4arch9wavefront6targetE0EEEvSY_,comdat
.Lfunc_end26:
	.size	_ZN7rocprim17ROCPRIM_400000_NS6detail17trampoline_kernelINS0_14default_configENS1_22reduce_config_selectorIN6thrust23THRUST_200600_302600_NS5tupleIbffNS6_9null_typeES8_S8_S8_S8_S8_S8_EEEEZNS1_11reduce_implILb1ES3_NS6_11hip_rocprim26transform_input_iterator_tIS9_NS6_12zip_iteratorINS7_INS6_17counting_iteratorIiNS6_11use_defaultESG_SG_EENS6_6detail15normal_iteratorINS6_10device_ptrIfEEEES8_S8_S8_S8_S8_S8_S8_S8_EEEE15transform_tupleIifEEEPS9_S9_12reduce_tupleIifEEE10hipError_tPvRmT1_T2_T3_mT4_P12ihipStream_tbEUlT_E0_NS1_11comp_targetILNS1_3genE9ELNS1_11target_archE1100ELNS1_3gpuE3ELNS1_3repE0EEENS1_30default_config_static_selectorELNS0_4arch9wavefront6targetE0EEEvSY_, .Lfunc_end26-_ZN7rocprim17ROCPRIM_400000_NS6detail17trampoline_kernelINS0_14default_configENS1_22reduce_config_selectorIN6thrust23THRUST_200600_302600_NS5tupleIbffNS6_9null_typeES8_S8_S8_S8_S8_S8_EEEEZNS1_11reduce_implILb1ES3_NS6_11hip_rocprim26transform_input_iterator_tIS9_NS6_12zip_iteratorINS7_INS6_17counting_iteratorIiNS6_11use_defaultESG_SG_EENS6_6detail15normal_iteratorINS6_10device_ptrIfEEEES8_S8_S8_S8_S8_S8_S8_S8_EEEE15transform_tupleIifEEEPS9_S9_12reduce_tupleIifEEE10hipError_tPvRmT1_T2_T3_mT4_P12ihipStream_tbEUlT_E0_NS1_11comp_targetILNS1_3genE9ELNS1_11target_archE1100ELNS1_3gpuE3ELNS1_3repE0EEENS1_30default_config_static_selectorELNS0_4arch9wavefront6targetE0EEEvSY_
                                        ; -- End function
	.set _ZN7rocprim17ROCPRIM_400000_NS6detail17trampoline_kernelINS0_14default_configENS1_22reduce_config_selectorIN6thrust23THRUST_200600_302600_NS5tupleIbffNS6_9null_typeES8_S8_S8_S8_S8_S8_EEEEZNS1_11reduce_implILb1ES3_NS6_11hip_rocprim26transform_input_iterator_tIS9_NS6_12zip_iteratorINS7_INS6_17counting_iteratorIiNS6_11use_defaultESG_SG_EENS6_6detail15normal_iteratorINS6_10device_ptrIfEEEES8_S8_S8_S8_S8_S8_S8_S8_EEEE15transform_tupleIifEEEPS9_S9_12reduce_tupleIifEEE10hipError_tPvRmT1_T2_T3_mT4_P12ihipStream_tbEUlT_E0_NS1_11comp_targetILNS1_3genE9ELNS1_11target_archE1100ELNS1_3gpuE3ELNS1_3repE0EEENS1_30default_config_static_selectorELNS0_4arch9wavefront6targetE0EEEvSY_.num_vgpr, 0
	.set _ZN7rocprim17ROCPRIM_400000_NS6detail17trampoline_kernelINS0_14default_configENS1_22reduce_config_selectorIN6thrust23THRUST_200600_302600_NS5tupleIbffNS6_9null_typeES8_S8_S8_S8_S8_S8_EEEEZNS1_11reduce_implILb1ES3_NS6_11hip_rocprim26transform_input_iterator_tIS9_NS6_12zip_iteratorINS7_INS6_17counting_iteratorIiNS6_11use_defaultESG_SG_EENS6_6detail15normal_iteratorINS6_10device_ptrIfEEEES8_S8_S8_S8_S8_S8_S8_S8_EEEE15transform_tupleIifEEEPS9_S9_12reduce_tupleIifEEE10hipError_tPvRmT1_T2_T3_mT4_P12ihipStream_tbEUlT_E0_NS1_11comp_targetILNS1_3genE9ELNS1_11target_archE1100ELNS1_3gpuE3ELNS1_3repE0EEENS1_30default_config_static_selectorELNS0_4arch9wavefront6targetE0EEEvSY_.num_agpr, 0
	.set _ZN7rocprim17ROCPRIM_400000_NS6detail17trampoline_kernelINS0_14default_configENS1_22reduce_config_selectorIN6thrust23THRUST_200600_302600_NS5tupleIbffNS6_9null_typeES8_S8_S8_S8_S8_S8_EEEEZNS1_11reduce_implILb1ES3_NS6_11hip_rocprim26transform_input_iterator_tIS9_NS6_12zip_iteratorINS7_INS6_17counting_iteratorIiNS6_11use_defaultESG_SG_EENS6_6detail15normal_iteratorINS6_10device_ptrIfEEEES8_S8_S8_S8_S8_S8_S8_S8_EEEE15transform_tupleIifEEEPS9_S9_12reduce_tupleIifEEE10hipError_tPvRmT1_T2_T3_mT4_P12ihipStream_tbEUlT_E0_NS1_11comp_targetILNS1_3genE9ELNS1_11target_archE1100ELNS1_3gpuE3ELNS1_3repE0EEENS1_30default_config_static_selectorELNS0_4arch9wavefront6targetE0EEEvSY_.numbered_sgpr, 0
	.set _ZN7rocprim17ROCPRIM_400000_NS6detail17trampoline_kernelINS0_14default_configENS1_22reduce_config_selectorIN6thrust23THRUST_200600_302600_NS5tupleIbffNS6_9null_typeES8_S8_S8_S8_S8_S8_EEEEZNS1_11reduce_implILb1ES3_NS6_11hip_rocprim26transform_input_iterator_tIS9_NS6_12zip_iteratorINS7_INS6_17counting_iteratorIiNS6_11use_defaultESG_SG_EENS6_6detail15normal_iteratorINS6_10device_ptrIfEEEES8_S8_S8_S8_S8_S8_S8_S8_EEEE15transform_tupleIifEEEPS9_S9_12reduce_tupleIifEEE10hipError_tPvRmT1_T2_T3_mT4_P12ihipStream_tbEUlT_E0_NS1_11comp_targetILNS1_3genE9ELNS1_11target_archE1100ELNS1_3gpuE3ELNS1_3repE0EEENS1_30default_config_static_selectorELNS0_4arch9wavefront6targetE0EEEvSY_.num_named_barrier, 0
	.set _ZN7rocprim17ROCPRIM_400000_NS6detail17trampoline_kernelINS0_14default_configENS1_22reduce_config_selectorIN6thrust23THRUST_200600_302600_NS5tupleIbffNS6_9null_typeES8_S8_S8_S8_S8_S8_EEEEZNS1_11reduce_implILb1ES3_NS6_11hip_rocprim26transform_input_iterator_tIS9_NS6_12zip_iteratorINS7_INS6_17counting_iteratorIiNS6_11use_defaultESG_SG_EENS6_6detail15normal_iteratorINS6_10device_ptrIfEEEES8_S8_S8_S8_S8_S8_S8_S8_EEEE15transform_tupleIifEEEPS9_S9_12reduce_tupleIifEEE10hipError_tPvRmT1_T2_T3_mT4_P12ihipStream_tbEUlT_E0_NS1_11comp_targetILNS1_3genE9ELNS1_11target_archE1100ELNS1_3gpuE3ELNS1_3repE0EEENS1_30default_config_static_selectorELNS0_4arch9wavefront6targetE0EEEvSY_.private_seg_size, 0
	.set _ZN7rocprim17ROCPRIM_400000_NS6detail17trampoline_kernelINS0_14default_configENS1_22reduce_config_selectorIN6thrust23THRUST_200600_302600_NS5tupleIbffNS6_9null_typeES8_S8_S8_S8_S8_S8_EEEEZNS1_11reduce_implILb1ES3_NS6_11hip_rocprim26transform_input_iterator_tIS9_NS6_12zip_iteratorINS7_INS6_17counting_iteratorIiNS6_11use_defaultESG_SG_EENS6_6detail15normal_iteratorINS6_10device_ptrIfEEEES8_S8_S8_S8_S8_S8_S8_S8_EEEE15transform_tupleIifEEEPS9_S9_12reduce_tupleIifEEE10hipError_tPvRmT1_T2_T3_mT4_P12ihipStream_tbEUlT_E0_NS1_11comp_targetILNS1_3genE9ELNS1_11target_archE1100ELNS1_3gpuE3ELNS1_3repE0EEENS1_30default_config_static_selectorELNS0_4arch9wavefront6targetE0EEEvSY_.uses_vcc, 0
	.set _ZN7rocprim17ROCPRIM_400000_NS6detail17trampoline_kernelINS0_14default_configENS1_22reduce_config_selectorIN6thrust23THRUST_200600_302600_NS5tupleIbffNS6_9null_typeES8_S8_S8_S8_S8_S8_EEEEZNS1_11reduce_implILb1ES3_NS6_11hip_rocprim26transform_input_iterator_tIS9_NS6_12zip_iteratorINS7_INS6_17counting_iteratorIiNS6_11use_defaultESG_SG_EENS6_6detail15normal_iteratorINS6_10device_ptrIfEEEES8_S8_S8_S8_S8_S8_S8_S8_EEEE15transform_tupleIifEEEPS9_S9_12reduce_tupleIifEEE10hipError_tPvRmT1_T2_T3_mT4_P12ihipStream_tbEUlT_E0_NS1_11comp_targetILNS1_3genE9ELNS1_11target_archE1100ELNS1_3gpuE3ELNS1_3repE0EEENS1_30default_config_static_selectorELNS0_4arch9wavefront6targetE0EEEvSY_.uses_flat_scratch, 0
	.set _ZN7rocprim17ROCPRIM_400000_NS6detail17trampoline_kernelINS0_14default_configENS1_22reduce_config_selectorIN6thrust23THRUST_200600_302600_NS5tupleIbffNS6_9null_typeES8_S8_S8_S8_S8_S8_EEEEZNS1_11reduce_implILb1ES3_NS6_11hip_rocprim26transform_input_iterator_tIS9_NS6_12zip_iteratorINS7_INS6_17counting_iteratorIiNS6_11use_defaultESG_SG_EENS6_6detail15normal_iteratorINS6_10device_ptrIfEEEES8_S8_S8_S8_S8_S8_S8_S8_EEEE15transform_tupleIifEEEPS9_S9_12reduce_tupleIifEEE10hipError_tPvRmT1_T2_T3_mT4_P12ihipStream_tbEUlT_E0_NS1_11comp_targetILNS1_3genE9ELNS1_11target_archE1100ELNS1_3gpuE3ELNS1_3repE0EEENS1_30default_config_static_selectorELNS0_4arch9wavefront6targetE0EEEvSY_.has_dyn_sized_stack, 0
	.set _ZN7rocprim17ROCPRIM_400000_NS6detail17trampoline_kernelINS0_14default_configENS1_22reduce_config_selectorIN6thrust23THRUST_200600_302600_NS5tupleIbffNS6_9null_typeES8_S8_S8_S8_S8_S8_EEEEZNS1_11reduce_implILb1ES3_NS6_11hip_rocprim26transform_input_iterator_tIS9_NS6_12zip_iteratorINS7_INS6_17counting_iteratorIiNS6_11use_defaultESG_SG_EENS6_6detail15normal_iteratorINS6_10device_ptrIfEEEES8_S8_S8_S8_S8_S8_S8_S8_EEEE15transform_tupleIifEEEPS9_S9_12reduce_tupleIifEEE10hipError_tPvRmT1_T2_T3_mT4_P12ihipStream_tbEUlT_E0_NS1_11comp_targetILNS1_3genE9ELNS1_11target_archE1100ELNS1_3gpuE3ELNS1_3repE0EEENS1_30default_config_static_selectorELNS0_4arch9wavefront6targetE0EEEvSY_.has_recursion, 0
	.set _ZN7rocprim17ROCPRIM_400000_NS6detail17trampoline_kernelINS0_14default_configENS1_22reduce_config_selectorIN6thrust23THRUST_200600_302600_NS5tupleIbffNS6_9null_typeES8_S8_S8_S8_S8_S8_EEEEZNS1_11reduce_implILb1ES3_NS6_11hip_rocprim26transform_input_iterator_tIS9_NS6_12zip_iteratorINS7_INS6_17counting_iteratorIiNS6_11use_defaultESG_SG_EENS6_6detail15normal_iteratorINS6_10device_ptrIfEEEES8_S8_S8_S8_S8_S8_S8_S8_EEEE15transform_tupleIifEEEPS9_S9_12reduce_tupleIifEEE10hipError_tPvRmT1_T2_T3_mT4_P12ihipStream_tbEUlT_E0_NS1_11comp_targetILNS1_3genE9ELNS1_11target_archE1100ELNS1_3gpuE3ELNS1_3repE0EEENS1_30default_config_static_selectorELNS0_4arch9wavefront6targetE0EEEvSY_.has_indirect_call, 0
	.section	.AMDGPU.csdata,"",@progbits
; Kernel info:
; codeLenInByte = 0
; TotalNumSgprs: 0
; NumVgprs: 0
; ScratchSize: 0
; MemoryBound: 0
; FloatMode: 240
; IeeeMode: 1
; LDSByteSize: 0 bytes/workgroup (compile time only)
; SGPRBlocks: 0
; VGPRBlocks: 0
; NumSGPRsForWavesPerEU: 1
; NumVGPRsForWavesPerEU: 1
; NamedBarCnt: 0
; Occupancy: 16
; WaveLimiterHint : 0
; COMPUTE_PGM_RSRC2:SCRATCH_EN: 0
; COMPUTE_PGM_RSRC2:USER_SGPR: 2
; COMPUTE_PGM_RSRC2:TRAP_HANDLER: 0
; COMPUTE_PGM_RSRC2:TGID_X_EN: 1
; COMPUTE_PGM_RSRC2:TGID_Y_EN: 0
; COMPUTE_PGM_RSRC2:TGID_Z_EN: 0
; COMPUTE_PGM_RSRC2:TIDIG_COMP_CNT: 0
	.section	.text._ZN7rocprim17ROCPRIM_400000_NS6detail17trampoline_kernelINS0_14default_configENS1_22reduce_config_selectorIN6thrust23THRUST_200600_302600_NS5tupleIbffNS6_9null_typeES8_S8_S8_S8_S8_S8_EEEEZNS1_11reduce_implILb1ES3_NS6_11hip_rocprim26transform_input_iterator_tIS9_NS6_12zip_iteratorINS7_INS6_17counting_iteratorIiNS6_11use_defaultESG_SG_EENS6_6detail15normal_iteratorINS6_10device_ptrIfEEEES8_S8_S8_S8_S8_S8_S8_S8_EEEE15transform_tupleIifEEEPS9_S9_12reduce_tupleIifEEE10hipError_tPvRmT1_T2_T3_mT4_P12ihipStream_tbEUlT_E0_NS1_11comp_targetILNS1_3genE8ELNS1_11target_archE1030ELNS1_3gpuE2ELNS1_3repE0EEENS1_30default_config_static_selectorELNS0_4arch9wavefront6targetE0EEEvSY_,"axG",@progbits,_ZN7rocprim17ROCPRIM_400000_NS6detail17trampoline_kernelINS0_14default_configENS1_22reduce_config_selectorIN6thrust23THRUST_200600_302600_NS5tupleIbffNS6_9null_typeES8_S8_S8_S8_S8_S8_EEEEZNS1_11reduce_implILb1ES3_NS6_11hip_rocprim26transform_input_iterator_tIS9_NS6_12zip_iteratorINS7_INS6_17counting_iteratorIiNS6_11use_defaultESG_SG_EENS6_6detail15normal_iteratorINS6_10device_ptrIfEEEES8_S8_S8_S8_S8_S8_S8_S8_EEEE15transform_tupleIifEEEPS9_S9_12reduce_tupleIifEEE10hipError_tPvRmT1_T2_T3_mT4_P12ihipStream_tbEUlT_E0_NS1_11comp_targetILNS1_3genE8ELNS1_11target_archE1030ELNS1_3gpuE2ELNS1_3repE0EEENS1_30default_config_static_selectorELNS0_4arch9wavefront6targetE0EEEvSY_,comdat
	.protected	_ZN7rocprim17ROCPRIM_400000_NS6detail17trampoline_kernelINS0_14default_configENS1_22reduce_config_selectorIN6thrust23THRUST_200600_302600_NS5tupleIbffNS6_9null_typeES8_S8_S8_S8_S8_S8_EEEEZNS1_11reduce_implILb1ES3_NS6_11hip_rocprim26transform_input_iterator_tIS9_NS6_12zip_iteratorINS7_INS6_17counting_iteratorIiNS6_11use_defaultESG_SG_EENS6_6detail15normal_iteratorINS6_10device_ptrIfEEEES8_S8_S8_S8_S8_S8_S8_S8_EEEE15transform_tupleIifEEEPS9_S9_12reduce_tupleIifEEE10hipError_tPvRmT1_T2_T3_mT4_P12ihipStream_tbEUlT_E0_NS1_11comp_targetILNS1_3genE8ELNS1_11target_archE1030ELNS1_3gpuE2ELNS1_3repE0EEENS1_30default_config_static_selectorELNS0_4arch9wavefront6targetE0EEEvSY_ ; -- Begin function _ZN7rocprim17ROCPRIM_400000_NS6detail17trampoline_kernelINS0_14default_configENS1_22reduce_config_selectorIN6thrust23THRUST_200600_302600_NS5tupleIbffNS6_9null_typeES8_S8_S8_S8_S8_S8_EEEEZNS1_11reduce_implILb1ES3_NS6_11hip_rocprim26transform_input_iterator_tIS9_NS6_12zip_iteratorINS7_INS6_17counting_iteratorIiNS6_11use_defaultESG_SG_EENS6_6detail15normal_iteratorINS6_10device_ptrIfEEEES8_S8_S8_S8_S8_S8_S8_S8_EEEE15transform_tupleIifEEEPS9_S9_12reduce_tupleIifEEE10hipError_tPvRmT1_T2_T3_mT4_P12ihipStream_tbEUlT_E0_NS1_11comp_targetILNS1_3genE8ELNS1_11target_archE1030ELNS1_3gpuE2ELNS1_3repE0EEENS1_30default_config_static_selectorELNS0_4arch9wavefront6targetE0EEEvSY_
	.globl	_ZN7rocprim17ROCPRIM_400000_NS6detail17trampoline_kernelINS0_14default_configENS1_22reduce_config_selectorIN6thrust23THRUST_200600_302600_NS5tupleIbffNS6_9null_typeES8_S8_S8_S8_S8_S8_EEEEZNS1_11reduce_implILb1ES3_NS6_11hip_rocprim26transform_input_iterator_tIS9_NS6_12zip_iteratorINS7_INS6_17counting_iteratorIiNS6_11use_defaultESG_SG_EENS6_6detail15normal_iteratorINS6_10device_ptrIfEEEES8_S8_S8_S8_S8_S8_S8_S8_EEEE15transform_tupleIifEEEPS9_S9_12reduce_tupleIifEEE10hipError_tPvRmT1_T2_T3_mT4_P12ihipStream_tbEUlT_E0_NS1_11comp_targetILNS1_3genE8ELNS1_11target_archE1030ELNS1_3gpuE2ELNS1_3repE0EEENS1_30default_config_static_selectorELNS0_4arch9wavefront6targetE0EEEvSY_
	.p2align	8
	.type	_ZN7rocprim17ROCPRIM_400000_NS6detail17trampoline_kernelINS0_14default_configENS1_22reduce_config_selectorIN6thrust23THRUST_200600_302600_NS5tupleIbffNS6_9null_typeES8_S8_S8_S8_S8_S8_EEEEZNS1_11reduce_implILb1ES3_NS6_11hip_rocprim26transform_input_iterator_tIS9_NS6_12zip_iteratorINS7_INS6_17counting_iteratorIiNS6_11use_defaultESG_SG_EENS6_6detail15normal_iteratorINS6_10device_ptrIfEEEES8_S8_S8_S8_S8_S8_S8_S8_EEEE15transform_tupleIifEEEPS9_S9_12reduce_tupleIifEEE10hipError_tPvRmT1_T2_T3_mT4_P12ihipStream_tbEUlT_E0_NS1_11comp_targetILNS1_3genE8ELNS1_11target_archE1030ELNS1_3gpuE2ELNS1_3repE0EEENS1_30default_config_static_selectorELNS0_4arch9wavefront6targetE0EEEvSY_,@function
_ZN7rocprim17ROCPRIM_400000_NS6detail17trampoline_kernelINS0_14default_configENS1_22reduce_config_selectorIN6thrust23THRUST_200600_302600_NS5tupleIbffNS6_9null_typeES8_S8_S8_S8_S8_S8_EEEEZNS1_11reduce_implILb1ES3_NS6_11hip_rocprim26transform_input_iterator_tIS9_NS6_12zip_iteratorINS7_INS6_17counting_iteratorIiNS6_11use_defaultESG_SG_EENS6_6detail15normal_iteratorINS6_10device_ptrIfEEEES8_S8_S8_S8_S8_S8_S8_S8_EEEE15transform_tupleIifEEEPS9_S9_12reduce_tupleIifEEE10hipError_tPvRmT1_T2_T3_mT4_P12ihipStream_tbEUlT_E0_NS1_11comp_targetILNS1_3genE8ELNS1_11target_archE1030ELNS1_3gpuE2ELNS1_3repE0EEENS1_30default_config_static_selectorELNS0_4arch9wavefront6targetE0EEEvSY_: ; @_ZN7rocprim17ROCPRIM_400000_NS6detail17trampoline_kernelINS0_14default_configENS1_22reduce_config_selectorIN6thrust23THRUST_200600_302600_NS5tupleIbffNS6_9null_typeES8_S8_S8_S8_S8_S8_EEEEZNS1_11reduce_implILb1ES3_NS6_11hip_rocprim26transform_input_iterator_tIS9_NS6_12zip_iteratorINS7_INS6_17counting_iteratorIiNS6_11use_defaultESG_SG_EENS6_6detail15normal_iteratorINS6_10device_ptrIfEEEES8_S8_S8_S8_S8_S8_S8_S8_EEEE15transform_tupleIifEEEPS9_S9_12reduce_tupleIifEEE10hipError_tPvRmT1_T2_T3_mT4_P12ihipStream_tbEUlT_E0_NS1_11comp_targetILNS1_3genE8ELNS1_11target_archE1030ELNS1_3gpuE2ELNS1_3repE0EEENS1_30default_config_static_selectorELNS0_4arch9wavefront6targetE0EEEvSY_
; %bb.0:
	.section	.rodata,"a",@progbits
	.p2align	6, 0x0
	.amdhsa_kernel _ZN7rocprim17ROCPRIM_400000_NS6detail17trampoline_kernelINS0_14default_configENS1_22reduce_config_selectorIN6thrust23THRUST_200600_302600_NS5tupleIbffNS6_9null_typeES8_S8_S8_S8_S8_S8_EEEEZNS1_11reduce_implILb1ES3_NS6_11hip_rocprim26transform_input_iterator_tIS9_NS6_12zip_iteratorINS7_INS6_17counting_iteratorIiNS6_11use_defaultESG_SG_EENS6_6detail15normal_iteratorINS6_10device_ptrIfEEEES8_S8_S8_S8_S8_S8_S8_S8_EEEE15transform_tupleIifEEEPS9_S9_12reduce_tupleIifEEE10hipError_tPvRmT1_T2_T3_mT4_P12ihipStream_tbEUlT_E0_NS1_11comp_targetILNS1_3genE8ELNS1_11target_archE1030ELNS1_3gpuE2ELNS1_3repE0EEENS1_30default_config_static_selectorELNS0_4arch9wavefront6targetE0EEEvSY_
		.amdhsa_group_segment_fixed_size 0
		.amdhsa_private_segment_fixed_size 0
		.amdhsa_kernarg_size 80
		.amdhsa_user_sgpr_count 2
		.amdhsa_user_sgpr_dispatch_ptr 0
		.amdhsa_user_sgpr_queue_ptr 0
		.amdhsa_user_sgpr_kernarg_segment_ptr 1
		.amdhsa_user_sgpr_dispatch_id 0
		.amdhsa_user_sgpr_kernarg_preload_length 0
		.amdhsa_user_sgpr_kernarg_preload_offset 0
		.amdhsa_user_sgpr_private_segment_size 0
		.amdhsa_wavefront_size32 1
		.amdhsa_uses_dynamic_stack 0
		.amdhsa_enable_private_segment 0
		.amdhsa_system_sgpr_workgroup_id_x 1
		.amdhsa_system_sgpr_workgroup_id_y 0
		.amdhsa_system_sgpr_workgroup_id_z 0
		.amdhsa_system_sgpr_workgroup_info 0
		.amdhsa_system_vgpr_workitem_id 0
		.amdhsa_next_free_vgpr 1
		.amdhsa_next_free_sgpr 1
		.amdhsa_named_barrier_count 0
		.amdhsa_reserve_vcc 0
		.amdhsa_float_round_mode_32 0
		.amdhsa_float_round_mode_16_64 0
		.amdhsa_float_denorm_mode_32 3
		.amdhsa_float_denorm_mode_16_64 3
		.amdhsa_fp16_overflow 0
		.amdhsa_memory_ordered 1
		.amdhsa_forward_progress 1
		.amdhsa_inst_pref_size 0
		.amdhsa_round_robin_scheduling 0
		.amdhsa_exception_fp_ieee_invalid_op 0
		.amdhsa_exception_fp_denorm_src 0
		.amdhsa_exception_fp_ieee_div_zero 0
		.amdhsa_exception_fp_ieee_overflow 0
		.amdhsa_exception_fp_ieee_underflow 0
		.amdhsa_exception_fp_ieee_inexact 0
		.amdhsa_exception_int_div_zero 0
	.end_amdhsa_kernel
	.section	.text._ZN7rocprim17ROCPRIM_400000_NS6detail17trampoline_kernelINS0_14default_configENS1_22reduce_config_selectorIN6thrust23THRUST_200600_302600_NS5tupleIbffNS6_9null_typeES8_S8_S8_S8_S8_S8_EEEEZNS1_11reduce_implILb1ES3_NS6_11hip_rocprim26transform_input_iterator_tIS9_NS6_12zip_iteratorINS7_INS6_17counting_iteratorIiNS6_11use_defaultESG_SG_EENS6_6detail15normal_iteratorINS6_10device_ptrIfEEEES8_S8_S8_S8_S8_S8_S8_S8_EEEE15transform_tupleIifEEEPS9_S9_12reduce_tupleIifEEE10hipError_tPvRmT1_T2_T3_mT4_P12ihipStream_tbEUlT_E0_NS1_11comp_targetILNS1_3genE8ELNS1_11target_archE1030ELNS1_3gpuE2ELNS1_3repE0EEENS1_30default_config_static_selectorELNS0_4arch9wavefront6targetE0EEEvSY_,"axG",@progbits,_ZN7rocprim17ROCPRIM_400000_NS6detail17trampoline_kernelINS0_14default_configENS1_22reduce_config_selectorIN6thrust23THRUST_200600_302600_NS5tupleIbffNS6_9null_typeES8_S8_S8_S8_S8_S8_EEEEZNS1_11reduce_implILb1ES3_NS6_11hip_rocprim26transform_input_iterator_tIS9_NS6_12zip_iteratorINS7_INS6_17counting_iteratorIiNS6_11use_defaultESG_SG_EENS6_6detail15normal_iteratorINS6_10device_ptrIfEEEES8_S8_S8_S8_S8_S8_S8_S8_EEEE15transform_tupleIifEEEPS9_S9_12reduce_tupleIifEEE10hipError_tPvRmT1_T2_T3_mT4_P12ihipStream_tbEUlT_E0_NS1_11comp_targetILNS1_3genE8ELNS1_11target_archE1030ELNS1_3gpuE2ELNS1_3repE0EEENS1_30default_config_static_selectorELNS0_4arch9wavefront6targetE0EEEvSY_,comdat
.Lfunc_end27:
	.size	_ZN7rocprim17ROCPRIM_400000_NS6detail17trampoline_kernelINS0_14default_configENS1_22reduce_config_selectorIN6thrust23THRUST_200600_302600_NS5tupleIbffNS6_9null_typeES8_S8_S8_S8_S8_S8_EEEEZNS1_11reduce_implILb1ES3_NS6_11hip_rocprim26transform_input_iterator_tIS9_NS6_12zip_iteratorINS7_INS6_17counting_iteratorIiNS6_11use_defaultESG_SG_EENS6_6detail15normal_iteratorINS6_10device_ptrIfEEEES8_S8_S8_S8_S8_S8_S8_S8_EEEE15transform_tupleIifEEEPS9_S9_12reduce_tupleIifEEE10hipError_tPvRmT1_T2_T3_mT4_P12ihipStream_tbEUlT_E0_NS1_11comp_targetILNS1_3genE8ELNS1_11target_archE1030ELNS1_3gpuE2ELNS1_3repE0EEENS1_30default_config_static_selectorELNS0_4arch9wavefront6targetE0EEEvSY_, .Lfunc_end27-_ZN7rocprim17ROCPRIM_400000_NS6detail17trampoline_kernelINS0_14default_configENS1_22reduce_config_selectorIN6thrust23THRUST_200600_302600_NS5tupleIbffNS6_9null_typeES8_S8_S8_S8_S8_S8_EEEEZNS1_11reduce_implILb1ES3_NS6_11hip_rocprim26transform_input_iterator_tIS9_NS6_12zip_iteratorINS7_INS6_17counting_iteratorIiNS6_11use_defaultESG_SG_EENS6_6detail15normal_iteratorINS6_10device_ptrIfEEEES8_S8_S8_S8_S8_S8_S8_S8_EEEE15transform_tupleIifEEEPS9_S9_12reduce_tupleIifEEE10hipError_tPvRmT1_T2_T3_mT4_P12ihipStream_tbEUlT_E0_NS1_11comp_targetILNS1_3genE8ELNS1_11target_archE1030ELNS1_3gpuE2ELNS1_3repE0EEENS1_30default_config_static_selectorELNS0_4arch9wavefront6targetE0EEEvSY_
                                        ; -- End function
	.set _ZN7rocprim17ROCPRIM_400000_NS6detail17trampoline_kernelINS0_14default_configENS1_22reduce_config_selectorIN6thrust23THRUST_200600_302600_NS5tupleIbffNS6_9null_typeES8_S8_S8_S8_S8_S8_EEEEZNS1_11reduce_implILb1ES3_NS6_11hip_rocprim26transform_input_iterator_tIS9_NS6_12zip_iteratorINS7_INS6_17counting_iteratorIiNS6_11use_defaultESG_SG_EENS6_6detail15normal_iteratorINS6_10device_ptrIfEEEES8_S8_S8_S8_S8_S8_S8_S8_EEEE15transform_tupleIifEEEPS9_S9_12reduce_tupleIifEEE10hipError_tPvRmT1_T2_T3_mT4_P12ihipStream_tbEUlT_E0_NS1_11comp_targetILNS1_3genE8ELNS1_11target_archE1030ELNS1_3gpuE2ELNS1_3repE0EEENS1_30default_config_static_selectorELNS0_4arch9wavefront6targetE0EEEvSY_.num_vgpr, 0
	.set _ZN7rocprim17ROCPRIM_400000_NS6detail17trampoline_kernelINS0_14default_configENS1_22reduce_config_selectorIN6thrust23THRUST_200600_302600_NS5tupleIbffNS6_9null_typeES8_S8_S8_S8_S8_S8_EEEEZNS1_11reduce_implILb1ES3_NS6_11hip_rocprim26transform_input_iterator_tIS9_NS6_12zip_iteratorINS7_INS6_17counting_iteratorIiNS6_11use_defaultESG_SG_EENS6_6detail15normal_iteratorINS6_10device_ptrIfEEEES8_S8_S8_S8_S8_S8_S8_S8_EEEE15transform_tupleIifEEEPS9_S9_12reduce_tupleIifEEE10hipError_tPvRmT1_T2_T3_mT4_P12ihipStream_tbEUlT_E0_NS1_11comp_targetILNS1_3genE8ELNS1_11target_archE1030ELNS1_3gpuE2ELNS1_3repE0EEENS1_30default_config_static_selectorELNS0_4arch9wavefront6targetE0EEEvSY_.num_agpr, 0
	.set _ZN7rocprim17ROCPRIM_400000_NS6detail17trampoline_kernelINS0_14default_configENS1_22reduce_config_selectorIN6thrust23THRUST_200600_302600_NS5tupleIbffNS6_9null_typeES8_S8_S8_S8_S8_S8_EEEEZNS1_11reduce_implILb1ES3_NS6_11hip_rocprim26transform_input_iterator_tIS9_NS6_12zip_iteratorINS7_INS6_17counting_iteratorIiNS6_11use_defaultESG_SG_EENS6_6detail15normal_iteratorINS6_10device_ptrIfEEEES8_S8_S8_S8_S8_S8_S8_S8_EEEE15transform_tupleIifEEEPS9_S9_12reduce_tupleIifEEE10hipError_tPvRmT1_T2_T3_mT4_P12ihipStream_tbEUlT_E0_NS1_11comp_targetILNS1_3genE8ELNS1_11target_archE1030ELNS1_3gpuE2ELNS1_3repE0EEENS1_30default_config_static_selectorELNS0_4arch9wavefront6targetE0EEEvSY_.numbered_sgpr, 0
	.set _ZN7rocprim17ROCPRIM_400000_NS6detail17trampoline_kernelINS0_14default_configENS1_22reduce_config_selectorIN6thrust23THRUST_200600_302600_NS5tupleIbffNS6_9null_typeES8_S8_S8_S8_S8_S8_EEEEZNS1_11reduce_implILb1ES3_NS6_11hip_rocprim26transform_input_iterator_tIS9_NS6_12zip_iteratorINS7_INS6_17counting_iteratorIiNS6_11use_defaultESG_SG_EENS6_6detail15normal_iteratorINS6_10device_ptrIfEEEES8_S8_S8_S8_S8_S8_S8_S8_EEEE15transform_tupleIifEEEPS9_S9_12reduce_tupleIifEEE10hipError_tPvRmT1_T2_T3_mT4_P12ihipStream_tbEUlT_E0_NS1_11comp_targetILNS1_3genE8ELNS1_11target_archE1030ELNS1_3gpuE2ELNS1_3repE0EEENS1_30default_config_static_selectorELNS0_4arch9wavefront6targetE0EEEvSY_.num_named_barrier, 0
	.set _ZN7rocprim17ROCPRIM_400000_NS6detail17trampoline_kernelINS0_14default_configENS1_22reduce_config_selectorIN6thrust23THRUST_200600_302600_NS5tupleIbffNS6_9null_typeES8_S8_S8_S8_S8_S8_EEEEZNS1_11reduce_implILb1ES3_NS6_11hip_rocprim26transform_input_iterator_tIS9_NS6_12zip_iteratorINS7_INS6_17counting_iteratorIiNS6_11use_defaultESG_SG_EENS6_6detail15normal_iteratorINS6_10device_ptrIfEEEES8_S8_S8_S8_S8_S8_S8_S8_EEEE15transform_tupleIifEEEPS9_S9_12reduce_tupleIifEEE10hipError_tPvRmT1_T2_T3_mT4_P12ihipStream_tbEUlT_E0_NS1_11comp_targetILNS1_3genE8ELNS1_11target_archE1030ELNS1_3gpuE2ELNS1_3repE0EEENS1_30default_config_static_selectorELNS0_4arch9wavefront6targetE0EEEvSY_.private_seg_size, 0
	.set _ZN7rocprim17ROCPRIM_400000_NS6detail17trampoline_kernelINS0_14default_configENS1_22reduce_config_selectorIN6thrust23THRUST_200600_302600_NS5tupleIbffNS6_9null_typeES8_S8_S8_S8_S8_S8_EEEEZNS1_11reduce_implILb1ES3_NS6_11hip_rocprim26transform_input_iterator_tIS9_NS6_12zip_iteratorINS7_INS6_17counting_iteratorIiNS6_11use_defaultESG_SG_EENS6_6detail15normal_iteratorINS6_10device_ptrIfEEEES8_S8_S8_S8_S8_S8_S8_S8_EEEE15transform_tupleIifEEEPS9_S9_12reduce_tupleIifEEE10hipError_tPvRmT1_T2_T3_mT4_P12ihipStream_tbEUlT_E0_NS1_11comp_targetILNS1_3genE8ELNS1_11target_archE1030ELNS1_3gpuE2ELNS1_3repE0EEENS1_30default_config_static_selectorELNS0_4arch9wavefront6targetE0EEEvSY_.uses_vcc, 0
	.set _ZN7rocprim17ROCPRIM_400000_NS6detail17trampoline_kernelINS0_14default_configENS1_22reduce_config_selectorIN6thrust23THRUST_200600_302600_NS5tupleIbffNS6_9null_typeES8_S8_S8_S8_S8_S8_EEEEZNS1_11reduce_implILb1ES3_NS6_11hip_rocprim26transform_input_iterator_tIS9_NS6_12zip_iteratorINS7_INS6_17counting_iteratorIiNS6_11use_defaultESG_SG_EENS6_6detail15normal_iteratorINS6_10device_ptrIfEEEES8_S8_S8_S8_S8_S8_S8_S8_EEEE15transform_tupleIifEEEPS9_S9_12reduce_tupleIifEEE10hipError_tPvRmT1_T2_T3_mT4_P12ihipStream_tbEUlT_E0_NS1_11comp_targetILNS1_3genE8ELNS1_11target_archE1030ELNS1_3gpuE2ELNS1_3repE0EEENS1_30default_config_static_selectorELNS0_4arch9wavefront6targetE0EEEvSY_.uses_flat_scratch, 0
	.set _ZN7rocprim17ROCPRIM_400000_NS6detail17trampoline_kernelINS0_14default_configENS1_22reduce_config_selectorIN6thrust23THRUST_200600_302600_NS5tupleIbffNS6_9null_typeES8_S8_S8_S8_S8_S8_EEEEZNS1_11reduce_implILb1ES3_NS6_11hip_rocprim26transform_input_iterator_tIS9_NS6_12zip_iteratorINS7_INS6_17counting_iteratorIiNS6_11use_defaultESG_SG_EENS6_6detail15normal_iteratorINS6_10device_ptrIfEEEES8_S8_S8_S8_S8_S8_S8_S8_EEEE15transform_tupleIifEEEPS9_S9_12reduce_tupleIifEEE10hipError_tPvRmT1_T2_T3_mT4_P12ihipStream_tbEUlT_E0_NS1_11comp_targetILNS1_3genE8ELNS1_11target_archE1030ELNS1_3gpuE2ELNS1_3repE0EEENS1_30default_config_static_selectorELNS0_4arch9wavefront6targetE0EEEvSY_.has_dyn_sized_stack, 0
	.set _ZN7rocprim17ROCPRIM_400000_NS6detail17trampoline_kernelINS0_14default_configENS1_22reduce_config_selectorIN6thrust23THRUST_200600_302600_NS5tupleIbffNS6_9null_typeES8_S8_S8_S8_S8_S8_EEEEZNS1_11reduce_implILb1ES3_NS6_11hip_rocprim26transform_input_iterator_tIS9_NS6_12zip_iteratorINS7_INS6_17counting_iteratorIiNS6_11use_defaultESG_SG_EENS6_6detail15normal_iteratorINS6_10device_ptrIfEEEES8_S8_S8_S8_S8_S8_S8_S8_EEEE15transform_tupleIifEEEPS9_S9_12reduce_tupleIifEEE10hipError_tPvRmT1_T2_T3_mT4_P12ihipStream_tbEUlT_E0_NS1_11comp_targetILNS1_3genE8ELNS1_11target_archE1030ELNS1_3gpuE2ELNS1_3repE0EEENS1_30default_config_static_selectorELNS0_4arch9wavefront6targetE0EEEvSY_.has_recursion, 0
	.set _ZN7rocprim17ROCPRIM_400000_NS6detail17trampoline_kernelINS0_14default_configENS1_22reduce_config_selectorIN6thrust23THRUST_200600_302600_NS5tupleIbffNS6_9null_typeES8_S8_S8_S8_S8_S8_EEEEZNS1_11reduce_implILb1ES3_NS6_11hip_rocprim26transform_input_iterator_tIS9_NS6_12zip_iteratorINS7_INS6_17counting_iteratorIiNS6_11use_defaultESG_SG_EENS6_6detail15normal_iteratorINS6_10device_ptrIfEEEES8_S8_S8_S8_S8_S8_S8_S8_EEEE15transform_tupleIifEEEPS9_S9_12reduce_tupleIifEEE10hipError_tPvRmT1_T2_T3_mT4_P12ihipStream_tbEUlT_E0_NS1_11comp_targetILNS1_3genE8ELNS1_11target_archE1030ELNS1_3gpuE2ELNS1_3repE0EEENS1_30default_config_static_selectorELNS0_4arch9wavefront6targetE0EEEvSY_.has_indirect_call, 0
	.section	.AMDGPU.csdata,"",@progbits
; Kernel info:
; codeLenInByte = 0
; TotalNumSgprs: 0
; NumVgprs: 0
; ScratchSize: 0
; MemoryBound: 0
; FloatMode: 240
; IeeeMode: 1
; LDSByteSize: 0 bytes/workgroup (compile time only)
; SGPRBlocks: 0
; VGPRBlocks: 0
; NumSGPRsForWavesPerEU: 1
; NumVGPRsForWavesPerEU: 1
; NamedBarCnt: 0
; Occupancy: 16
; WaveLimiterHint : 0
; COMPUTE_PGM_RSRC2:SCRATCH_EN: 0
; COMPUTE_PGM_RSRC2:USER_SGPR: 2
; COMPUTE_PGM_RSRC2:TRAP_HANDLER: 0
; COMPUTE_PGM_RSRC2:TGID_X_EN: 1
; COMPUTE_PGM_RSRC2:TGID_Y_EN: 0
; COMPUTE_PGM_RSRC2:TGID_Z_EN: 0
; COMPUTE_PGM_RSRC2:TIDIG_COMP_CNT: 0
	.section	.text._ZN7rocprim17ROCPRIM_400000_NS6detail17trampoline_kernelINS0_14default_configENS1_22reduce_config_selectorIN6thrust23THRUST_200600_302600_NS5tupleIbffNS6_9null_typeES8_S8_S8_S8_S8_S8_EEEEZNS1_11reduce_implILb1ES3_NS6_11hip_rocprim26transform_input_iterator_tIS9_NS6_12zip_iteratorINS7_INS6_17counting_iteratorIiNS6_11use_defaultESG_SG_EENS6_6detail15normal_iteratorINS6_10device_ptrIfEEEES8_S8_S8_S8_S8_S8_S8_S8_EEEE15transform_tupleIifEEEPS9_S9_12reduce_tupleIifEEE10hipError_tPvRmT1_T2_T3_mT4_P12ihipStream_tbEUlT_E1_NS1_11comp_targetILNS1_3genE0ELNS1_11target_archE4294967295ELNS1_3gpuE0ELNS1_3repE0EEENS1_30default_config_static_selectorELNS0_4arch9wavefront6targetE0EEEvSY_,"axG",@progbits,_ZN7rocprim17ROCPRIM_400000_NS6detail17trampoline_kernelINS0_14default_configENS1_22reduce_config_selectorIN6thrust23THRUST_200600_302600_NS5tupleIbffNS6_9null_typeES8_S8_S8_S8_S8_S8_EEEEZNS1_11reduce_implILb1ES3_NS6_11hip_rocprim26transform_input_iterator_tIS9_NS6_12zip_iteratorINS7_INS6_17counting_iteratorIiNS6_11use_defaultESG_SG_EENS6_6detail15normal_iteratorINS6_10device_ptrIfEEEES8_S8_S8_S8_S8_S8_S8_S8_EEEE15transform_tupleIifEEEPS9_S9_12reduce_tupleIifEEE10hipError_tPvRmT1_T2_T3_mT4_P12ihipStream_tbEUlT_E1_NS1_11comp_targetILNS1_3genE0ELNS1_11target_archE4294967295ELNS1_3gpuE0ELNS1_3repE0EEENS1_30default_config_static_selectorELNS0_4arch9wavefront6targetE0EEEvSY_,comdat
	.protected	_ZN7rocprim17ROCPRIM_400000_NS6detail17trampoline_kernelINS0_14default_configENS1_22reduce_config_selectorIN6thrust23THRUST_200600_302600_NS5tupleIbffNS6_9null_typeES8_S8_S8_S8_S8_S8_EEEEZNS1_11reduce_implILb1ES3_NS6_11hip_rocprim26transform_input_iterator_tIS9_NS6_12zip_iteratorINS7_INS6_17counting_iteratorIiNS6_11use_defaultESG_SG_EENS6_6detail15normal_iteratorINS6_10device_ptrIfEEEES8_S8_S8_S8_S8_S8_S8_S8_EEEE15transform_tupleIifEEEPS9_S9_12reduce_tupleIifEEE10hipError_tPvRmT1_T2_T3_mT4_P12ihipStream_tbEUlT_E1_NS1_11comp_targetILNS1_3genE0ELNS1_11target_archE4294967295ELNS1_3gpuE0ELNS1_3repE0EEENS1_30default_config_static_selectorELNS0_4arch9wavefront6targetE0EEEvSY_ ; -- Begin function _ZN7rocprim17ROCPRIM_400000_NS6detail17trampoline_kernelINS0_14default_configENS1_22reduce_config_selectorIN6thrust23THRUST_200600_302600_NS5tupleIbffNS6_9null_typeES8_S8_S8_S8_S8_S8_EEEEZNS1_11reduce_implILb1ES3_NS6_11hip_rocprim26transform_input_iterator_tIS9_NS6_12zip_iteratorINS7_INS6_17counting_iteratorIiNS6_11use_defaultESG_SG_EENS6_6detail15normal_iteratorINS6_10device_ptrIfEEEES8_S8_S8_S8_S8_S8_S8_S8_EEEE15transform_tupleIifEEEPS9_S9_12reduce_tupleIifEEE10hipError_tPvRmT1_T2_T3_mT4_P12ihipStream_tbEUlT_E1_NS1_11comp_targetILNS1_3genE0ELNS1_11target_archE4294967295ELNS1_3gpuE0ELNS1_3repE0EEENS1_30default_config_static_selectorELNS0_4arch9wavefront6targetE0EEEvSY_
	.globl	_ZN7rocprim17ROCPRIM_400000_NS6detail17trampoline_kernelINS0_14default_configENS1_22reduce_config_selectorIN6thrust23THRUST_200600_302600_NS5tupleIbffNS6_9null_typeES8_S8_S8_S8_S8_S8_EEEEZNS1_11reduce_implILb1ES3_NS6_11hip_rocprim26transform_input_iterator_tIS9_NS6_12zip_iteratorINS7_INS6_17counting_iteratorIiNS6_11use_defaultESG_SG_EENS6_6detail15normal_iteratorINS6_10device_ptrIfEEEES8_S8_S8_S8_S8_S8_S8_S8_EEEE15transform_tupleIifEEEPS9_S9_12reduce_tupleIifEEE10hipError_tPvRmT1_T2_T3_mT4_P12ihipStream_tbEUlT_E1_NS1_11comp_targetILNS1_3genE0ELNS1_11target_archE4294967295ELNS1_3gpuE0ELNS1_3repE0EEENS1_30default_config_static_selectorELNS0_4arch9wavefront6targetE0EEEvSY_
	.p2align	8
	.type	_ZN7rocprim17ROCPRIM_400000_NS6detail17trampoline_kernelINS0_14default_configENS1_22reduce_config_selectorIN6thrust23THRUST_200600_302600_NS5tupleIbffNS6_9null_typeES8_S8_S8_S8_S8_S8_EEEEZNS1_11reduce_implILb1ES3_NS6_11hip_rocprim26transform_input_iterator_tIS9_NS6_12zip_iteratorINS7_INS6_17counting_iteratorIiNS6_11use_defaultESG_SG_EENS6_6detail15normal_iteratorINS6_10device_ptrIfEEEES8_S8_S8_S8_S8_S8_S8_S8_EEEE15transform_tupleIifEEEPS9_S9_12reduce_tupleIifEEE10hipError_tPvRmT1_T2_T3_mT4_P12ihipStream_tbEUlT_E1_NS1_11comp_targetILNS1_3genE0ELNS1_11target_archE4294967295ELNS1_3gpuE0ELNS1_3repE0EEENS1_30default_config_static_selectorELNS0_4arch9wavefront6targetE0EEEvSY_,@function
_ZN7rocprim17ROCPRIM_400000_NS6detail17trampoline_kernelINS0_14default_configENS1_22reduce_config_selectorIN6thrust23THRUST_200600_302600_NS5tupleIbffNS6_9null_typeES8_S8_S8_S8_S8_S8_EEEEZNS1_11reduce_implILb1ES3_NS6_11hip_rocprim26transform_input_iterator_tIS9_NS6_12zip_iteratorINS7_INS6_17counting_iteratorIiNS6_11use_defaultESG_SG_EENS6_6detail15normal_iteratorINS6_10device_ptrIfEEEES8_S8_S8_S8_S8_S8_S8_S8_EEEE15transform_tupleIifEEEPS9_S9_12reduce_tupleIifEEE10hipError_tPvRmT1_T2_T3_mT4_P12ihipStream_tbEUlT_E1_NS1_11comp_targetILNS1_3genE0ELNS1_11target_archE4294967295ELNS1_3gpuE0ELNS1_3repE0EEENS1_30default_config_static_selectorELNS0_4arch9wavefront6targetE0EEEvSY_: ; @_ZN7rocprim17ROCPRIM_400000_NS6detail17trampoline_kernelINS0_14default_configENS1_22reduce_config_selectorIN6thrust23THRUST_200600_302600_NS5tupleIbffNS6_9null_typeES8_S8_S8_S8_S8_S8_EEEEZNS1_11reduce_implILb1ES3_NS6_11hip_rocprim26transform_input_iterator_tIS9_NS6_12zip_iteratorINS7_INS6_17counting_iteratorIiNS6_11use_defaultESG_SG_EENS6_6detail15normal_iteratorINS6_10device_ptrIfEEEES8_S8_S8_S8_S8_S8_S8_S8_EEEE15transform_tupleIifEEEPS9_S9_12reduce_tupleIifEEE10hipError_tPvRmT1_T2_T3_mT4_P12ihipStream_tbEUlT_E1_NS1_11comp_targetILNS1_3genE0ELNS1_11target_archE4294967295ELNS1_3gpuE0ELNS1_3repE0EEENS1_30default_config_static_selectorELNS0_4arch9wavefront6targetE0EEEvSY_
; %bb.0:
	s_clause 0x3
	s_load_b64 s[28:29], s[0:1], 0x4
	s_load_b256 s[16:23], s[0:1], 0x10
	s_load_b32 s30, s[0:1], 0x30
	s_load_b64 s[24:25], s[0:1], 0x34
	s_wait_kmcnt 0x0
	s_cmp_lt_i32 s28, 4
	s_cbranch_scc1 .LBB28_142
; %bb.1:
	s_cmp_gt_i32 s28, 7
	s_cbranch_scc0 .LBB28_143
; %bb.2:
	s_cmp_gt_i32 s28, 15
	s_cbranch_scc0 .LBB28_144
; %bb.3:
	s_cmp_eq_u32 s28, 16
	s_mov_b32 s31, 0
	s_cbranch_scc0 .LBB28_145
; %bb.4:
	s_bfe_u32 s0, ttmp6, 0x4000c
	s_and_b32 s1, ttmp6, 15
	s_add_co_i32 s0, s0, 1
	s_getreg_b32 s2, hwreg(HW_REG_IB_STS2, 6, 4)
	s_mul_i32 s0, ttmp9, s0
	s_mov_b32 s27, 0
	s_add_co_i32 s1, s1, s0
	s_cmp_eq_u32 s2, 0
	s_mov_b32 s3, s27
	s_cselect_b32 s26, ttmp9, s1
	s_lshr_b64 s[0:1], s[20:21], 11
	s_lshl_b32 s2, s26, 11
	s_delay_alu instid0(SALU_CYCLE_1)
	s_lshl_b64 s[4:5], s[2:3], 2
	s_add_co_i32 s33, s29, s2
	s_cmp_lg_u64 s[0:1], s[26:27]
	s_add_nc_u64 s[14:15], s[16:17], s[4:5]
	s_cbranch_scc0 .LBB28_238
; %bb.5:
	s_clause 0xf
	global_load_b32 v2, v0, s[14:15] scale_offset
	global_load_b32 v24, v0, s[14:15] offset:512 scale_offset
	global_load_b32 v23, v0, s[14:15] offset:1024 scale_offset
	;; [unrolled: 1-line block ×15, first 2 shown]
	s_abs_i32 s3, s19
	v_add_nc_u32_e32 v5, s33, v0
	s_cvt_f32_u32 s0, s3
	s_sub_co_i32 s1, 0, s3
	s_mov_b32 s5, s27
	s_delay_alu instid0(SALU_CYCLE_1) | instskip(SKIP_2) | instid1(VALU_DEP_1)
	v_rcp_iflag_f32_e32 v3, s0
	v_add_nc_u32_e32 v8, 0x80, v5
	v_sub_nc_u32_e32 v9, 0xffffff80, v5
	v_max_i32_e32 v9, v8, v9
	s_delay_alu instid0(TRANS32_DEP_1) | instskip(SKIP_2) | instid1(SALU_CYCLE_3)
	v_readfirstlane_b32 s0, v3
	v_add_nc_u32_e32 v25, 0x180, v5
	s_mul_f32 s0, s0, 0x4f7ffffe
	s_cvt_u32_f32 s0, s0
	s_delay_alu instid0(SALU_CYCLE_3) | instskip(NEXT) | instid1(SALU_CYCLE_1)
	s_mul_i32 s1, s1, s0
	s_mul_hi_u32 s1, s0, s1
	s_delay_alu instid0(SALU_CYCLE_1) | instskip(NEXT) | instid1(SALU_CYCLE_1)
	s_add_co_i32 s4, s0, s1
	v_mul_hi_u32 v11, v9, s4
	s_delay_alu instid0(VALU_DEP_1) | instskip(NEXT) | instid1(VALU_DEP_1)
	v_mul_lo_u32 v11, v11, s3
	v_dual_sub_nc_u32 v3, 0, v5 :: v_dual_sub_nc_u32 v9, v9, v11
	s_delay_alu instid0(VALU_DEP_1) | instskip(NEXT) | instid1(VALU_DEP_2)
	v_max_i32_e32 v3, v5, v3
	v_subrev_nc_u32_e32 v11, s3, v9
	s_delay_alu instid0(VALU_DEP_2) | instskip(NEXT) | instid1(VALU_DEP_1)
	v_mul_hi_u32 v10, v3, s4
	v_mul_lo_u32 v10, v10, s3
	s_delay_alu instid0(VALU_DEP_1) | instskip(NEXT) | instid1(VALU_DEP_1)
	v_sub_nc_u32_e32 v3, v3, v10
	v_subrev_nc_u32_e32 v10, s3, v3
	v_cmp_le_u32_e32 vcc_lo, s3, v3
	s_delay_alu instid0(VALU_DEP_2) | instskip(SKIP_2) | instid1(VALU_DEP_3)
	v_cndmask_b32_e32 v3, v3, v10, vcc_lo
	v_cmp_le_u32_e32 vcc_lo, s3, v9
	v_ashrrev_i32_e32 v8, 31, v8
	v_subrev_nc_u32_e32 v10, s3, v3
	v_cndmask_b32_e32 v9, v9, v11, vcc_lo
	v_cmp_le_u32_e32 vcc_lo, s3, v3
	v_ashrrev_i32_e32 v11, 31, v5
	s_delay_alu instid0(VALU_DEP_3) | instskip(SKIP_2) | instid1(VALU_DEP_2)
	v_subrev_nc_u32_e32 v12, s3, v9
	v_cndmask_b32_e32 v3, v3, v10, vcc_lo
	v_cmp_le_u32_e32 vcc_lo, s3, v9
	v_dual_cndmask_b32 v9, v9, v12, vcc_lo :: v_dual_bitop2_b32 v3, v3, v11 bitop3:0x14
	s_delay_alu instid0(VALU_DEP_1) | instskip(SKIP_2) | instid1(VALU_DEP_3)
	v_dual_sub_nc_u32 v10, v3, v11 :: v_dual_bitop2_b32 v9, v9, v8 bitop3:0x14
	v_add_nc_u32_e32 v3, 0x100, v5
	v_sub_nc_u32_e32 v11, 0xffffff00, v5
	v_cmp_le_i32_e64 s0, s18, v10
	s_delay_alu instid0(VALU_DEP_4) | instskip(NEXT) | instid1(VALU_DEP_3)
	v_dual_mov_b32 v9, 0 :: v_dual_sub_nc_u32 v8, v9, v8
	v_max_i32_e32 v10, v3, v11
	s_delay_alu instid0(VALU_DEP_2) | instskip(SKIP_1) | instid1(VALU_DEP_4)
	v_cmp_le_i32_e64 s1, s18, v8
	v_cmp_gt_i32_e32 vcc_lo, s18, v8
	v_dual_mov_b32 v11, v9 :: v_dual_sub_nc_u32 v8, 0xfffffe80, v5
	s_or_b32 s6, s0, s1
                                        ; implicit-def: $sgpr1
	s_wait_xcnt 0x0
	s_and_saveexec_b32 s7, s6
	s_delay_alu instid0(SALU_CYCLE_1)
	s_xor_b32 s6, exec_lo, s7
	s_cbranch_execz .LBB28_9
; %bb.6:
	s_mov_b32 s1, -1
	s_and_saveexec_b32 s7, s0
	s_cbranch_execz .LBB28_8
; %bb.7:
	s_wait_loadcnt 0xe
	v_mov_b32_e32 v2, v24
	s_or_not1_b32 s1, vcc_lo, exec_lo
.LBB28_8:
	s_or_b32 exec_lo, exec_lo, s7
                                        ; implicit-def: $vgpr24
.LBB28_9:
	s_or_saveexec_b32 s0, s6
	v_mul_u64_e32 v[12:13], s[4:5], v[10:11]
	v_dual_ashrrev_i32 v11, 31, v3 :: v_dual_max_i32 v8, v25, v8
	s_wait_loadcnt 0xf
	v_mov_b32_e32 v3, v2
	s_xor_b32 exec_lo, exec_lo, s0
	s_cbranch_execz .LBB28_11
; %bb.10:
	s_wait_loadcnt 0xe
	v_cmp_lt_f32_e32 vcc_lo, v24, v2
	s_or_b32 s1, s1, exec_lo
	v_cndmask_b32_e32 v12, v2, v24, vcc_lo
	v_cmp_lt_f32_e32 vcc_lo, v2, v24
	s_delay_alu instid0(VALU_DEP_2)
	v_dual_cndmask_b32 v3, v2, v24 :: v_dual_mov_b32 v2, v12
.LBB28_11:
	s_or_b32 exec_lo, exec_lo, s0
	s_delay_alu instid0(VALU_DEP_3) | instskip(SKIP_3) | instid1(VALU_DEP_2)
	v_mul_lo_u32 v12, v13, s3
	s_wait_loadcnt 0xe
	v_add_nc_u32_e32 v24, 0x200, v5
	s_mov_b32 s0, -1
	v_sub_nc_u32_e32 v10, v10, v12
	s_delay_alu instid0(VALU_DEP_1) | instskip(SKIP_1) | instid1(VALU_DEP_2)
	v_subrev_nc_u32_e32 v12, s3, v10
	v_cmp_le_u32_e32 vcc_lo, s3, v10
	v_cndmask_b32_e32 v10, v10, v12, vcc_lo
	s_delay_alu instid0(VALU_DEP_1) | instskip(SKIP_1) | instid1(VALU_DEP_2)
	v_subrev_nc_u32_e32 v12, s3, v10
	v_cmp_le_u32_e32 vcc_lo, s3, v10
	v_cndmask_b32_e32 v10, v10, v12, vcc_lo
	v_sub_nc_u32_e32 v12, 0xfffffe00, v5
	s_delay_alu instid0(VALU_DEP_2) | instskip(NEXT) | instid1(VALU_DEP_1)
	v_xor_b32_e32 v10, v10, v11
	v_sub_nc_u32_e32 v10, v10, v11
	s_delay_alu instid0(VALU_DEP_1) | instskip(SKIP_1) | instid1(SALU_CYCLE_1)
	v_cmp_gt_i32_e32 vcc_lo, s18, v10
	s_and_b32 s6, s1, vcc_lo
	s_xor_b32 s6, s6, -1
	s_delay_alu instid0(SALU_CYCLE_1) | instskip(NEXT) | instid1(SALU_CYCLE_1)
	s_and_saveexec_b32 s7, s6
	s_xor_b32 s6, exec_lo, s7
	s_cbranch_execz .LBB28_15
; %bb.12:
	s_xor_b32 s7, s1, -1
	s_delay_alu instid0(SALU_CYCLE_1)
	s_and_saveexec_b32 s1, s7
	s_cbranch_execz .LBB28_14
; %bb.13:
	s_wait_loadcnt 0xd
	v_dual_mov_b32 v3, v23 :: v_dual_mov_b32 v2, v23
	s_or_not1_b32 s0, vcc_lo, exec_lo
.LBB28_14:
	s_or_b32 exec_lo, exec_lo, s1
                                        ; implicit-def: $vgpr23
.LBB28_15:
	s_or_saveexec_b32 s1, s6
	v_mul_u64_e32 v[10:11], s[4:5], v[8:9]
	v_dual_ashrrev_i32 v12, 31, v25 :: v_dual_max_i32 v10, v24, v12
	s_xor_b32 exec_lo, exec_lo, s1
	s_cbranch_execz .LBB28_17
; %bb.16:
	s_wait_loadcnt 0xd
	v_cmp_lt_f32_e32 vcc_lo, v23, v2
	s_or_b32 s0, s0, exec_lo
	v_cndmask_b32_e32 v2, v2, v23, vcc_lo
	v_cmp_lt_f32_e32 vcc_lo, v3, v23
	v_cndmask_b32_e32 v3, v3, v23, vcc_lo
.LBB28_17:
	s_or_b32 exec_lo, exec_lo, s1
	s_delay_alu instid0(VALU_DEP_2) | instskip(SKIP_3) | instid1(VALU_DEP_2)
	v_mul_lo_u32 v11, v11, s3
	s_mov_b32 s1, -1
	s_wait_loadcnt 0xd
	v_add_nc_u32_e32 v23, 0x280, v5
	v_sub_nc_u32_e32 v8, v8, v11
	s_delay_alu instid0(VALU_DEP_1) | instskip(SKIP_1) | instid1(VALU_DEP_2)
	v_subrev_nc_u32_e32 v11, s3, v8
	v_cmp_le_u32_e32 vcc_lo, s3, v8
	v_cndmask_b32_e32 v8, v8, v11, vcc_lo
	s_delay_alu instid0(VALU_DEP_1) | instskip(SKIP_1) | instid1(VALU_DEP_2)
	v_subrev_nc_u32_e32 v11, s3, v8
	v_cmp_le_u32_e32 vcc_lo, s3, v8
	v_dual_cndmask_b32 v8, v8, v11 :: v_dual_mov_b32 v11, v9
	s_delay_alu instid0(VALU_DEP_1) | instskip(NEXT) | instid1(VALU_DEP_1)
	v_xor_b32_e32 v8, v8, v12
	v_sub_nc_u32_e32 v8, v8, v12
	s_delay_alu instid0(VALU_DEP_1) | instskip(SKIP_2) | instid1(SALU_CYCLE_1)
	v_cmp_gt_i32_e32 vcc_lo, s18, v8
	v_sub_nc_u32_e32 v8, 0xfffffd80, v5
	s_and_b32 s6, s0, vcc_lo
	s_xor_b32 s6, s6, -1
	s_delay_alu instid0(SALU_CYCLE_1) | instskip(NEXT) | instid1(SALU_CYCLE_1)
	s_and_saveexec_b32 s7, s6
	s_xor_b32 s6, exec_lo, s7
	s_cbranch_execz .LBB28_21
; %bb.18:
	s_xor_b32 s7, s0, -1
	s_delay_alu instid0(SALU_CYCLE_1)
	s_and_saveexec_b32 s0, s7
	s_cbranch_execz .LBB28_20
; %bb.19:
	s_wait_loadcnt 0xc
	v_dual_mov_b32 v3, v22 :: v_dual_mov_b32 v2, v22
	s_or_not1_b32 s1, vcc_lo, exec_lo
.LBB28_20:
	s_or_b32 exec_lo, exec_lo, s0
                                        ; implicit-def: $vgpr22
.LBB28_21:
	s_or_saveexec_b32 s0, s6
	v_mul_u64_e32 v[12:13], s[4:5], v[10:11]
	v_max_i32_e32 v8, v23, v8
	v_ashrrev_i32_e32 v11, 31, v24
	s_xor_b32 exec_lo, exec_lo, s0
	s_cbranch_execz .LBB28_23
; %bb.22:
	s_wait_loadcnt 0xc
	v_cmp_lt_f32_e32 vcc_lo, v22, v2
	s_or_b32 s1, s1, exec_lo
	v_cndmask_b32_e32 v2, v2, v22, vcc_lo
	v_cmp_lt_f32_e32 vcc_lo, v3, v22
	v_cndmask_b32_e32 v3, v3, v22, vcc_lo
.LBB28_23:
	s_or_b32 exec_lo, exec_lo, s0
	s_delay_alu instid0(VALU_DEP_3) | instskip(SKIP_3) | instid1(VALU_DEP_2)
	v_mul_lo_u32 v12, v13, s3
	s_wait_loadcnt 0xc
	v_add_nc_u32_e32 v22, 0x300, v5
	s_mov_b32 s0, -1
	v_sub_nc_u32_e32 v10, v10, v12
	s_delay_alu instid0(VALU_DEP_1) | instskip(SKIP_1) | instid1(VALU_DEP_2)
	v_subrev_nc_u32_e32 v12, s3, v10
	v_cmp_le_u32_e32 vcc_lo, s3, v10
	v_cndmask_b32_e32 v10, v10, v12, vcc_lo
	s_delay_alu instid0(VALU_DEP_1) | instskip(SKIP_1) | instid1(VALU_DEP_2)
	v_subrev_nc_u32_e32 v12, s3, v10
	v_cmp_le_u32_e32 vcc_lo, s3, v10
	v_cndmask_b32_e32 v10, v10, v12, vcc_lo
	v_sub_nc_u32_e32 v12, 0xfffffd00, v5
	s_delay_alu instid0(VALU_DEP_2) | instskip(NEXT) | instid1(VALU_DEP_1)
	v_xor_b32_e32 v10, v10, v11
	v_sub_nc_u32_e32 v10, v10, v11
	s_delay_alu instid0(VALU_DEP_1) | instskip(SKIP_1) | instid1(SALU_CYCLE_1)
	v_cmp_gt_i32_e32 vcc_lo, s18, v10
	s_and_b32 s6, s1, vcc_lo
	s_xor_b32 s6, s6, -1
	s_delay_alu instid0(SALU_CYCLE_1) | instskip(NEXT) | instid1(SALU_CYCLE_1)
	s_and_saveexec_b32 s7, s6
	s_xor_b32 s6, exec_lo, s7
	s_cbranch_execz .LBB28_27
; %bb.24:
	s_xor_b32 s7, s1, -1
	s_delay_alu instid0(SALU_CYCLE_1)
	s_and_saveexec_b32 s1, s7
	s_cbranch_execz .LBB28_26
; %bb.25:
	s_wait_loadcnt 0xb
	v_dual_mov_b32 v3, v21 :: v_dual_mov_b32 v2, v21
	s_or_not1_b32 s0, vcc_lo, exec_lo
.LBB28_26:
	s_or_b32 exec_lo, exec_lo, s1
                                        ; implicit-def: $vgpr21
.LBB28_27:
	s_or_saveexec_b32 s1, s6
	v_mul_u64_e32 v[10:11], s[4:5], v[8:9]
	v_dual_ashrrev_i32 v12, 31, v23 :: v_dual_max_i32 v10, v22, v12
	s_xor_b32 exec_lo, exec_lo, s1
	s_cbranch_execz .LBB28_29
; %bb.28:
	s_wait_loadcnt 0xb
	v_cmp_lt_f32_e32 vcc_lo, v21, v2
	s_or_b32 s0, s0, exec_lo
	v_cndmask_b32_e32 v2, v2, v21, vcc_lo
	v_cmp_lt_f32_e32 vcc_lo, v3, v21
	v_cndmask_b32_e32 v3, v3, v21, vcc_lo
.LBB28_29:
	s_or_b32 exec_lo, exec_lo, s1
	s_delay_alu instid0(VALU_DEP_2) | instskip(SKIP_3) | instid1(VALU_DEP_2)
	v_mul_lo_u32 v11, v11, s3
	s_mov_b32 s1, -1
	s_wait_loadcnt 0xb
	v_add_nc_u32_e32 v21, 0x380, v5
	v_sub_nc_u32_e32 v8, v8, v11
	s_delay_alu instid0(VALU_DEP_1) | instskip(SKIP_1) | instid1(VALU_DEP_2)
	v_subrev_nc_u32_e32 v11, s3, v8
	v_cmp_le_u32_e32 vcc_lo, s3, v8
	v_cndmask_b32_e32 v8, v8, v11, vcc_lo
	s_delay_alu instid0(VALU_DEP_1) | instskip(SKIP_1) | instid1(VALU_DEP_2)
	v_subrev_nc_u32_e32 v11, s3, v8
	v_cmp_le_u32_e32 vcc_lo, s3, v8
	v_dual_cndmask_b32 v8, v8, v11 :: v_dual_mov_b32 v11, v9
	s_delay_alu instid0(VALU_DEP_1) | instskip(NEXT) | instid1(VALU_DEP_1)
	v_xor_b32_e32 v8, v8, v12
	v_sub_nc_u32_e32 v8, v8, v12
	s_delay_alu instid0(VALU_DEP_1) | instskip(SKIP_2) | instid1(SALU_CYCLE_1)
	v_cmp_gt_i32_e32 vcc_lo, s18, v8
	v_sub_nc_u32_e32 v8, 0xfffffc80, v5
	s_and_b32 s6, s0, vcc_lo
	s_xor_b32 s6, s6, -1
	s_delay_alu instid0(SALU_CYCLE_1) | instskip(NEXT) | instid1(SALU_CYCLE_1)
	s_and_saveexec_b32 s7, s6
	s_xor_b32 s6, exec_lo, s7
	s_cbranch_execz .LBB28_33
; %bb.30:
	s_xor_b32 s7, s0, -1
	s_delay_alu instid0(SALU_CYCLE_1)
	s_and_saveexec_b32 s0, s7
	s_cbranch_execz .LBB28_32
; %bb.31:
	s_wait_loadcnt 0xa
	v_dual_mov_b32 v3, v20 :: v_dual_mov_b32 v2, v20
	s_or_not1_b32 s1, vcc_lo, exec_lo
.LBB28_32:
	s_or_b32 exec_lo, exec_lo, s0
                                        ; implicit-def: $vgpr20
.LBB28_33:
	s_or_saveexec_b32 s0, s6
	v_mul_u64_e32 v[12:13], s[4:5], v[10:11]
	v_dual_ashrrev_i32 v11, 31, v22 :: v_dual_max_i32 v8, v21, v8
	s_xor_b32 exec_lo, exec_lo, s0
	s_cbranch_execz .LBB28_35
; %bb.34:
	s_wait_loadcnt 0xa
	v_cmp_lt_f32_e32 vcc_lo, v20, v2
	s_or_b32 s1, s1, exec_lo
	v_cndmask_b32_e32 v2, v2, v20, vcc_lo
	v_cmp_lt_f32_e32 vcc_lo, v3, v20
	v_cndmask_b32_e32 v3, v3, v20, vcc_lo
.LBB28_35:
	s_or_b32 exec_lo, exec_lo, s0
	s_delay_alu instid0(VALU_DEP_2) | instskip(SKIP_3) | instid1(VALU_DEP_2)
	v_mul_lo_u32 v12, v13, s3
	s_wait_loadcnt 0xa
	v_add_nc_u32_e32 v20, 0x400, v5
	s_mov_b32 s0, -1
	v_sub_nc_u32_e32 v10, v10, v12
	s_delay_alu instid0(VALU_DEP_1) | instskip(SKIP_1) | instid1(VALU_DEP_2)
	v_subrev_nc_u32_e32 v12, s3, v10
	v_cmp_le_u32_e32 vcc_lo, s3, v10
	v_cndmask_b32_e32 v10, v10, v12, vcc_lo
	s_delay_alu instid0(VALU_DEP_1) | instskip(SKIP_1) | instid1(VALU_DEP_2)
	v_subrev_nc_u32_e32 v12, s3, v10
	v_cmp_le_u32_e32 vcc_lo, s3, v10
	v_cndmask_b32_e32 v10, v10, v12, vcc_lo
	v_sub_nc_u32_e32 v12, 0xfffffc00, v5
	s_delay_alu instid0(VALU_DEP_2) | instskip(NEXT) | instid1(VALU_DEP_1)
	v_xor_b32_e32 v10, v10, v11
	v_sub_nc_u32_e32 v10, v10, v11
	s_delay_alu instid0(VALU_DEP_1) | instskip(SKIP_1) | instid1(SALU_CYCLE_1)
	v_cmp_gt_i32_e32 vcc_lo, s18, v10
	s_and_b32 s6, s1, vcc_lo
	s_xor_b32 s6, s6, -1
	s_delay_alu instid0(SALU_CYCLE_1) | instskip(NEXT) | instid1(SALU_CYCLE_1)
	s_and_saveexec_b32 s7, s6
	s_xor_b32 s6, exec_lo, s7
	s_cbranch_execz .LBB28_39
; %bb.36:
	s_xor_b32 s7, s1, -1
	s_delay_alu instid0(SALU_CYCLE_1)
	s_and_saveexec_b32 s1, s7
	s_cbranch_execz .LBB28_38
; %bb.37:
	s_wait_loadcnt 0x9
	v_dual_mov_b32 v3, v19 :: v_dual_mov_b32 v2, v19
	s_or_not1_b32 s0, vcc_lo, exec_lo
.LBB28_38:
	s_or_b32 exec_lo, exec_lo, s1
                                        ; implicit-def: $vgpr19
.LBB28_39:
	s_or_saveexec_b32 s1, s6
	v_mul_u64_e32 v[10:11], s[4:5], v[8:9]
	v_dual_ashrrev_i32 v12, 31, v21 :: v_dual_max_i32 v10, v20, v12
	s_xor_b32 exec_lo, exec_lo, s1
	s_cbranch_execz .LBB28_41
; %bb.40:
	s_wait_loadcnt 0x9
	v_cmp_lt_f32_e32 vcc_lo, v19, v2
	s_or_b32 s0, s0, exec_lo
	v_cndmask_b32_e32 v2, v2, v19, vcc_lo
	v_cmp_lt_f32_e32 vcc_lo, v3, v19
	v_cndmask_b32_e32 v3, v3, v19, vcc_lo
.LBB28_41:
	s_or_b32 exec_lo, exec_lo, s1
	s_delay_alu instid0(VALU_DEP_2) | instskip(SKIP_3) | instid1(VALU_DEP_2)
	v_mul_lo_u32 v11, v11, s3
	s_mov_b32 s1, -1
	s_wait_loadcnt 0x9
	v_add_nc_u32_e32 v19, 0x480, v5
	v_sub_nc_u32_e32 v8, v8, v11
	s_delay_alu instid0(VALU_DEP_1) | instskip(SKIP_1) | instid1(VALU_DEP_2)
	v_subrev_nc_u32_e32 v11, s3, v8
	v_cmp_le_u32_e32 vcc_lo, s3, v8
	v_cndmask_b32_e32 v8, v8, v11, vcc_lo
	s_delay_alu instid0(VALU_DEP_1) | instskip(SKIP_1) | instid1(VALU_DEP_2)
	v_subrev_nc_u32_e32 v11, s3, v8
	v_cmp_le_u32_e32 vcc_lo, s3, v8
	v_dual_cndmask_b32 v8, v8, v11 :: v_dual_mov_b32 v11, v9
	s_delay_alu instid0(VALU_DEP_1) | instskip(NEXT) | instid1(VALU_DEP_1)
	v_xor_b32_e32 v8, v8, v12
	v_sub_nc_u32_e32 v8, v8, v12
	s_delay_alu instid0(VALU_DEP_1) | instskip(SKIP_2) | instid1(SALU_CYCLE_1)
	v_cmp_gt_i32_e32 vcc_lo, s18, v8
	v_sub_nc_u32_e32 v8, 0xfffffb80, v5
	s_and_b32 s6, s0, vcc_lo
	s_xor_b32 s6, s6, -1
	s_delay_alu instid0(SALU_CYCLE_1) | instskip(NEXT) | instid1(SALU_CYCLE_1)
	s_and_saveexec_b32 s7, s6
	s_xor_b32 s6, exec_lo, s7
	s_cbranch_execz .LBB28_45
; %bb.42:
	s_xor_b32 s7, s0, -1
	s_delay_alu instid0(SALU_CYCLE_1)
	s_and_saveexec_b32 s0, s7
	s_cbranch_execz .LBB28_44
; %bb.43:
	s_wait_loadcnt 0x8
	v_dual_mov_b32 v3, v18 :: v_dual_mov_b32 v2, v18
	s_or_not1_b32 s1, vcc_lo, exec_lo
.LBB28_44:
	s_or_b32 exec_lo, exec_lo, s0
                                        ; implicit-def: $vgpr18
.LBB28_45:
	s_or_saveexec_b32 s0, s6
	v_mul_u64_e32 v[12:13], s[4:5], v[10:11]
	v_max_i32_e32 v8, v19, v8
	v_ashrrev_i32_e32 v11, 31, v20
	s_xor_b32 exec_lo, exec_lo, s0
	s_cbranch_execz .LBB28_47
; %bb.46:
	s_wait_loadcnt 0x8
	v_cmp_lt_f32_e32 vcc_lo, v18, v2
	s_or_b32 s1, s1, exec_lo
	v_cndmask_b32_e32 v2, v2, v18, vcc_lo
	v_cmp_lt_f32_e32 vcc_lo, v3, v18
	v_cndmask_b32_e32 v3, v3, v18, vcc_lo
.LBB28_47:
	s_or_b32 exec_lo, exec_lo, s0
	s_delay_alu instid0(VALU_DEP_3) | instskip(SKIP_3) | instid1(VALU_DEP_2)
	v_mul_lo_u32 v12, v13, s3
	s_wait_loadcnt 0x8
	v_add_nc_u32_e32 v18, 0x500, v5
	s_mov_b32 s0, -1
	v_sub_nc_u32_e32 v10, v10, v12
	s_delay_alu instid0(VALU_DEP_1) | instskip(SKIP_1) | instid1(VALU_DEP_2)
	v_subrev_nc_u32_e32 v12, s3, v10
	v_cmp_le_u32_e32 vcc_lo, s3, v10
	v_cndmask_b32_e32 v10, v10, v12, vcc_lo
	s_delay_alu instid0(VALU_DEP_1) | instskip(SKIP_1) | instid1(VALU_DEP_2)
	v_subrev_nc_u32_e32 v12, s3, v10
	v_cmp_le_u32_e32 vcc_lo, s3, v10
	v_cndmask_b32_e32 v10, v10, v12, vcc_lo
	v_sub_nc_u32_e32 v12, 0xfffffb00, v5
	s_delay_alu instid0(VALU_DEP_2) | instskip(NEXT) | instid1(VALU_DEP_1)
	v_xor_b32_e32 v10, v10, v11
	v_sub_nc_u32_e32 v10, v10, v11
	s_delay_alu instid0(VALU_DEP_1) | instskip(SKIP_1) | instid1(SALU_CYCLE_1)
	v_cmp_gt_i32_e32 vcc_lo, s18, v10
	s_and_b32 s6, s1, vcc_lo
	s_xor_b32 s6, s6, -1
	s_delay_alu instid0(SALU_CYCLE_1) | instskip(NEXT) | instid1(SALU_CYCLE_1)
	s_and_saveexec_b32 s7, s6
	s_xor_b32 s6, exec_lo, s7
	s_cbranch_execz .LBB28_51
; %bb.48:
	s_xor_b32 s7, s1, -1
	s_delay_alu instid0(SALU_CYCLE_1)
	s_and_saveexec_b32 s1, s7
	s_cbranch_execz .LBB28_50
; %bb.49:
	s_wait_loadcnt 0x7
	v_dual_mov_b32 v3, v17 :: v_dual_mov_b32 v2, v17
	s_or_not1_b32 s0, vcc_lo, exec_lo
.LBB28_50:
	s_or_b32 exec_lo, exec_lo, s1
                                        ; implicit-def: $vgpr17
.LBB28_51:
	s_or_saveexec_b32 s1, s6
	v_mul_u64_e32 v[10:11], s[4:5], v[8:9]
	v_dual_ashrrev_i32 v12, 31, v19 :: v_dual_max_i32 v10, v18, v12
	s_xor_b32 exec_lo, exec_lo, s1
	s_cbranch_execz .LBB28_53
; %bb.52:
	s_wait_loadcnt 0x7
	v_cmp_lt_f32_e32 vcc_lo, v17, v2
	s_or_b32 s0, s0, exec_lo
	v_cndmask_b32_e32 v2, v2, v17, vcc_lo
	v_cmp_lt_f32_e32 vcc_lo, v3, v17
	v_cndmask_b32_e32 v3, v3, v17, vcc_lo
.LBB28_53:
	s_or_b32 exec_lo, exec_lo, s1
	s_delay_alu instid0(VALU_DEP_2) | instskip(SKIP_3) | instid1(VALU_DEP_2)
	v_mul_lo_u32 v11, v11, s3
	s_mov_b32 s1, -1
	s_wait_loadcnt 0x7
	v_add_nc_u32_e32 v17, 0x580, v5
	v_sub_nc_u32_e32 v8, v8, v11
	s_delay_alu instid0(VALU_DEP_1) | instskip(SKIP_1) | instid1(VALU_DEP_2)
	v_subrev_nc_u32_e32 v11, s3, v8
	v_cmp_le_u32_e32 vcc_lo, s3, v8
	v_cndmask_b32_e32 v8, v8, v11, vcc_lo
	s_delay_alu instid0(VALU_DEP_1) | instskip(SKIP_1) | instid1(VALU_DEP_2)
	v_subrev_nc_u32_e32 v11, s3, v8
	v_cmp_le_u32_e32 vcc_lo, s3, v8
	v_dual_cndmask_b32 v8, v8, v11 :: v_dual_mov_b32 v11, v9
	s_delay_alu instid0(VALU_DEP_1) | instskip(NEXT) | instid1(VALU_DEP_1)
	v_xor_b32_e32 v8, v8, v12
	v_sub_nc_u32_e32 v8, v8, v12
	s_delay_alu instid0(VALU_DEP_1) | instskip(SKIP_2) | instid1(SALU_CYCLE_1)
	v_cmp_gt_i32_e32 vcc_lo, s18, v8
	v_sub_nc_u32_e32 v8, 0xfffffa80, v5
	s_and_b32 s6, s0, vcc_lo
	s_xor_b32 s6, s6, -1
	s_delay_alu instid0(SALU_CYCLE_1) | instskip(NEXT) | instid1(SALU_CYCLE_1)
	s_and_saveexec_b32 s7, s6
	s_xor_b32 s6, exec_lo, s7
	s_cbranch_execz .LBB28_57
; %bb.54:
	s_xor_b32 s7, s0, -1
	s_delay_alu instid0(SALU_CYCLE_1)
	s_and_saveexec_b32 s0, s7
	s_cbranch_execz .LBB28_56
; %bb.55:
	s_wait_loadcnt 0x6
	v_dual_mov_b32 v3, v16 :: v_dual_mov_b32 v2, v16
	s_or_not1_b32 s1, vcc_lo, exec_lo
.LBB28_56:
	s_or_b32 exec_lo, exec_lo, s0
                                        ; implicit-def: $vgpr16
.LBB28_57:
	s_or_saveexec_b32 s0, s6
	v_mul_u64_e32 v[12:13], s[4:5], v[10:11]
	v_dual_ashrrev_i32 v11, 31, v18 :: v_dual_max_i32 v8, v17, v8
	s_xor_b32 exec_lo, exec_lo, s0
	s_cbranch_execz .LBB28_59
; %bb.58:
	s_wait_loadcnt 0x6
	v_cmp_lt_f32_e32 vcc_lo, v16, v2
	s_or_b32 s1, s1, exec_lo
	v_cndmask_b32_e32 v2, v2, v16, vcc_lo
	v_cmp_lt_f32_e32 vcc_lo, v3, v16
	v_cndmask_b32_e32 v3, v3, v16, vcc_lo
.LBB28_59:
	s_or_b32 exec_lo, exec_lo, s0
	s_delay_alu instid0(VALU_DEP_2) | instskip(SKIP_3) | instid1(VALU_DEP_2)
	v_mul_lo_u32 v12, v13, s3
	s_wait_loadcnt 0x6
	v_add_nc_u32_e32 v16, 0x600, v5
	s_mov_b32 s0, -1
	v_sub_nc_u32_e32 v10, v10, v12
	s_delay_alu instid0(VALU_DEP_1) | instskip(SKIP_1) | instid1(VALU_DEP_2)
	v_subrev_nc_u32_e32 v12, s3, v10
	v_cmp_le_u32_e32 vcc_lo, s3, v10
	v_cndmask_b32_e32 v10, v10, v12, vcc_lo
	s_delay_alu instid0(VALU_DEP_1) | instskip(SKIP_1) | instid1(VALU_DEP_2)
	v_subrev_nc_u32_e32 v12, s3, v10
	v_cmp_le_u32_e32 vcc_lo, s3, v10
	v_cndmask_b32_e32 v10, v10, v12, vcc_lo
	v_sub_nc_u32_e32 v12, 0xfffffa00, v5
	s_delay_alu instid0(VALU_DEP_2) | instskip(NEXT) | instid1(VALU_DEP_1)
	v_xor_b32_e32 v10, v10, v11
	v_sub_nc_u32_e32 v10, v10, v11
	s_delay_alu instid0(VALU_DEP_1) | instskip(SKIP_1) | instid1(SALU_CYCLE_1)
	v_cmp_gt_i32_e32 vcc_lo, s18, v10
	s_and_b32 s6, s1, vcc_lo
	s_xor_b32 s6, s6, -1
	s_delay_alu instid0(SALU_CYCLE_1) | instskip(NEXT) | instid1(SALU_CYCLE_1)
	s_and_saveexec_b32 s7, s6
	s_xor_b32 s6, exec_lo, s7
	s_cbranch_execz .LBB28_63
; %bb.60:
	s_xor_b32 s7, s1, -1
	s_delay_alu instid0(SALU_CYCLE_1)
	s_and_saveexec_b32 s1, s7
	s_cbranch_execz .LBB28_62
; %bb.61:
	s_wait_loadcnt 0x5
	v_dual_mov_b32 v3, v15 :: v_dual_mov_b32 v2, v15
	s_or_not1_b32 s0, vcc_lo, exec_lo
.LBB28_62:
	s_or_b32 exec_lo, exec_lo, s1
                                        ; implicit-def: $vgpr15
.LBB28_63:
	s_or_saveexec_b32 s1, s6
	v_mul_u64_e32 v[10:11], s[4:5], v[8:9]
	v_dual_ashrrev_i32 v12, 31, v17 :: v_dual_max_i32 v10, v16, v12
	s_xor_b32 exec_lo, exec_lo, s1
	s_cbranch_execz .LBB28_65
; %bb.64:
	s_wait_loadcnt 0x5
	v_cmp_lt_f32_e32 vcc_lo, v15, v2
	s_or_b32 s0, s0, exec_lo
	v_cndmask_b32_e32 v2, v2, v15, vcc_lo
	v_cmp_lt_f32_e32 vcc_lo, v3, v15
	v_cndmask_b32_e32 v3, v3, v15, vcc_lo
.LBB28_65:
	s_or_b32 exec_lo, exec_lo, s1
	s_delay_alu instid0(VALU_DEP_2) | instskip(SKIP_3) | instid1(VALU_DEP_2)
	v_mul_lo_u32 v11, v11, s3
	s_mov_b32 s1, -1
	s_wait_loadcnt 0x5
	v_add_nc_u32_e32 v15, 0x680, v5
	v_sub_nc_u32_e32 v8, v8, v11
	s_delay_alu instid0(VALU_DEP_1) | instskip(SKIP_1) | instid1(VALU_DEP_2)
	v_subrev_nc_u32_e32 v11, s3, v8
	v_cmp_le_u32_e32 vcc_lo, s3, v8
	v_cndmask_b32_e32 v8, v8, v11, vcc_lo
	s_delay_alu instid0(VALU_DEP_1) | instskip(SKIP_1) | instid1(VALU_DEP_2)
	v_subrev_nc_u32_e32 v11, s3, v8
	v_cmp_le_u32_e32 vcc_lo, s3, v8
	v_dual_cndmask_b32 v8, v8, v11 :: v_dual_mov_b32 v11, v9
	s_delay_alu instid0(VALU_DEP_1) | instskip(NEXT) | instid1(VALU_DEP_1)
	v_xor_b32_e32 v8, v8, v12
	v_sub_nc_u32_e32 v8, v8, v12
	s_delay_alu instid0(VALU_DEP_1) | instskip(SKIP_2) | instid1(SALU_CYCLE_1)
	v_cmp_gt_i32_e32 vcc_lo, s18, v8
	v_sub_nc_u32_e32 v8, 0xfffff980, v5
	s_and_b32 s6, s0, vcc_lo
	s_xor_b32 s6, s6, -1
	s_delay_alu instid0(SALU_CYCLE_1) | instskip(NEXT) | instid1(SALU_CYCLE_1)
	s_and_saveexec_b32 s7, s6
	s_xor_b32 s6, exec_lo, s7
	s_cbranch_execz .LBB28_69
; %bb.66:
	s_xor_b32 s7, s0, -1
	s_delay_alu instid0(SALU_CYCLE_1)
	s_and_saveexec_b32 s0, s7
	s_cbranch_execz .LBB28_68
; %bb.67:
	s_wait_loadcnt 0x4
	v_dual_mov_b32 v3, v14 :: v_dual_mov_b32 v2, v14
	s_or_not1_b32 s1, vcc_lo, exec_lo
.LBB28_68:
	s_or_b32 exec_lo, exec_lo, s0
                                        ; implicit-def: $vgpr14
.LBB28_69:
	s_or_saveexec_b32 s0, s6
	v_mul_u64_e32 v[12:13], s[4:5], v[10:11]
	v_max_i32_e32 v8, v15, v8
	v_ashrrev_i32_e32 v11, 31, v16
	s_xor_b32 exec_lo, exec_lo, s0
	s_cbranch_execz .LBB28_71
; %bb.70:
	s_wait_loadcnt 0x4
	v_cmp_lt_f32_e32 vcc_lo, v14, v2
	s_or_b32 s1, s1, exec_lo
	v_cndmask_b32_e32 v2, v2, v14, vcc_lo
	v_cmp_lt_f32_e32 vcc_lo, v3, v14
	v_cndmask_b32_e32 v3, v3, v14, vcc_lo
.LBB28_71:
	s_or_b32 exec_lo, exec_lo, s0
	s_delay_alu instid0(VALU_DEP_3) | instskip(SKIP_3) | instid1(VALU_DEP_2)
	v_mul_lo_u32 v12, v13, s3
	s_wait_loadcnt 0x4
	v_add_nc_u32_e32 v14, 0x700, v5
	s_mov_b32 s0, -1
	v_sub_nc_u32_e32 v10, v10, v12
	s_delay_alu instid0(VALU_DEP_1) | instskip(SKIP_1) | instid1(VALU_DEP_2)
	v_subrev_nc_u32_e32 v12, s3, v10
	v_cmp_le_u32_e32 vcc_lo, s3, v10
	v_cndmask_b32_e32 v10, v10, v12, vcc_lo
	s_delay_alu instid0(VALU_DEP_1) | instskip(SKIP_1) | instid1(VALU_DEP_2)
	v_subrev_nc_u32_e32 v12, s3, v10
	v_cmp_le_u32_e32 vcc_lo, s3, v10
	v_cndmask_b32_e32 v10, v10, v12, vcc_lo
	v_sub_nc_u32_e32 v12, 0xfffff900, v5
	s_delay_alu instid0(VALU_DEP_2) | instskip(NEXT) | instid1(VALU_DEP_1)
	v_xor_b32_e32 v10, v10, v11
	v_sub_nc_u32_e32 v10, v10, v11
	s_delay_alu instid0(VALU_DEP_1) | instskip(SKIP_1) | instid1(SALU_CYCLE_1)
	v_cmp_gt_i32_e32 vcc_lo, s18, v10
	s_and_b32 s6, s1, vcc_lo
	s_xor_b32 s6, s6, -1
	s_delay_alu instid0(SALU_CYCLE_1) | instskip(NEXT) | instid1(SALU_CYCLE_1)
	s_and_saveexec_b32 s7, s6
	s_xor_b32 s6, exec_lo, s7
	s_cbranch_execz .LBB28_75
; %bb.72:
	s_xor_b32 s7, s1, -1
	s_delay_alu instid0(SALU_CYCLE_1)
	s_and_saveexec_b32 s1, s7
	s_cbranch_execz .LBB28_74
; %bb.73:
	s_wait_loadcnt 0x3
	v_dual_mov_b32 v3, v7 :: v_dual_mov_b32 v2, v7
	s_or_not1_b32 s0, vcc_lo, exec_lo
.LBB28_74:
	s_or_b32 exec_lo, exec_lo, s1
                                        ; implicit-def: $vgpr7
.LBB28_75:
	s_or_saveexec_b32 s1, s6
	v_mul_u64_e32 v[10:11], s[4:5], v[8:9]
	v_dual_ashrrev_i32 v12, 31, v15 :: v_dual_max_i32 v10, v14, v12
	s_xor_b32 exec_lo, exec_lo, s1
	s_cbranch_execz .LBB28_77
; %bb.76:
	s_wait_loadcnt 0x3
	v_cmp_lt_f32_e32 vcc_lo, v7, v2
	s_or_b32 s0, s0, exec_lo
	v_cndmask_b32_e32 v2, v2, v7, vcc_lo
	v_cmp_lt_f32_e32 vcc_lo, v3, v7
	v_cndmask_b32_e32 v3, v3, v7, vcc_lo
.LBB28_77:
	s_or_b32 exec_lo, exec_lo, s1
	s_wait_loadcnt 0x3
	s_delay_alu instid0(VALU_DEP_2) | instskip(SKIP_3) | instid1(VALU_DEP_3)
	v_mul_lo_u32 v7, v11, s3
	v_add_nc_u32_e32 v15, 0x780, v5
	v_sub_nc_u32_e32 v5, 0xfffff880, v5
	s_mov_b32 s1, -1
	v_dual_mov_b32 v11, v9 :: v_dual_sub_nc_u32 v7, v8, v7
	s_delay_alu instid0(VALU_DEP_1) | instskip(SKIP_1) | instid1(VALU_DEP_2)
	v_subrev_nc_u32_e32 v8, s3, v7
	v_cmp_le_u32_e32 vcc_lo, s3, v7
	v_cndmask_b32_e32 v7, v7, v8, vcc_lo
	s_delay_alu instid0(VALU_DEP_1) | instskip(SKIP_1) | instid1(VALU_DEP_2)
	v_subrev_nc_u32_e32 v8, s3, v7
	v_cmp_le_u32_e32 vcc_lo, s3, v7
	v_cndmask_b32_e32 v7, v7, v8, vcc_lo
	s_delay_alu instid0(VALU_DEP_1) | instskip(NEXT) | instid1(VALU_DEP_1)
	v_xor_b32_e32 v7, v7, v12
	v_sub_nc_u32_e32 v7, v7, v12
	s_delay_alu instid0(VALU_DEP_1) | instskip(SKIP_1) | instid1(SALU_CYCLE_1)
	v_cmp_gt_i32_e32 vcc_lo, s18, v7
	s_and_b32 s6, s0, vcc_lo
	s_xor_b32 s6, s6, -1
	s_delay_alu instid0(SALU_CYCLE_1) | instskip(NEXT) | instid1(SALU_CYCLE_1)
	s_and_saveexec_b32 s7, s6
	s_xor_b32 s6, exec_lo, s7
	s_cbranch_execz .LBB28_81
; %bb.78:
	s_xor_b32 s7, s0, -1
	s_delay_alu instid0(SALU_CYCLE_1)
	s_and_saveexec_b32 s0, s7
	s_cbranch_execz .LBB28_80
; %bb.79:
	s_wait_loadcnt 0x2
	v_dual_mov_b32 v3, v1 :: v_dual_mov_b32 v2, v1
	s_or_not1_b32 s1, vcc_lo, exec_lo
.LBB28_80:
	s_or_b32 exec_lo, exec_lo, s0
                                        ; implicit-def: $vgpr1
.LBB28_81:
	s_or_saveexec_b32 s0, s6
	v_mul_u64_e32 v[12:13], s[4:5], v[10:11]
	v_dual_ashrrev_i32 v5, 31, v14 :: v_dual_max_i32 v8, v15, v5
	s_xor_b32 exec_lo, exec_lo, s0
	s_cbranch_execz .LBB28_83
; %bb.82:
	s_wait_loadcnt 0x2
	v_cmp_lt_f32_e32 vcc_lo, v1, v2
	s_or_b32 s1, s1, exec_lo
	v_cndmask_b32_e32 v2, v2, v1, vcc_lo
	v_cmp_lt_f32_e32 vcc_lo, v3, v1
	v_cndmask_b32_e32 v3, v3, v1, vcc_lo
.LBB28_83:
	s_or_b32 exec_lo, exec_lo, s0
	s_wait_loadcnt 0x2
	s_delay_alu instid0(VALU_DEP_2) | instskip(SKIP_1) | instid1(VALU_DEP_1)
	v_mul_lo_u32 v1, v13, s3
	s_mov_b32 s0, -1
	v_sub_nc_u32_e32 v1, v10, v1
	s_delay_alu instid0(VALU_DEP_1) | instskip(SKIP_1) | instid1(VALU_DEP_2)
	v_subrev_nc_u32_e32 v7, s3, v1
	v_cmp_le_u32_e32 vcc_lo, s3, v1
	v_cndmask_b32_e32 v1, v1, v7, vcc_lo
	s_delay_alu instid0(VALU_DEP_1) | instskip(SKIP_1) | instid1(VALU_DEP_2)
	v_subrev_nc_u32_e32 v7, s3, v1
	v_cmp_le_u32_e32 vcc_lo, s3, v1
	v_cndmask_b32_e32 v1, v1, v7, vcc_lo
	s_delay_alu instid0(VALU_DEP_1) | instskip(NEXT) | instid1(VALU_DEP_1)
	v_xor_b32_e32 v1, v1, v5
	v_sub_nc_u32_e32 v1, v1, v5
	s_delay_alu instid0(VALU_DEP_1) | instskip(SKIP_1) | instid1(SALU_CYCLE_1)
	v_cmp_gt_i32_e32 vcc_lo, s18, v1
	s_and_b32 s6, s1, vcc_lo
	s_xor_b32 s6, s6, -1
	s_delay_alu instid0(SALU_CYCLE_1) | instskip(NEXT) | instid1(SALU_CYCLE_1)
	s_and_saveexec_b32 s7, s6
	s_xor_b32 s6, exec_lo, s7
	s_cbranch_execz .LBB28_87
; %bb.84:
	s_xor_b32 s7, s1, -1
	s_delay_alu instid0(SALU_CYCLE_1)
	s_and_saveexec_b32 s1, s7
	s_cbranch_execz .LBB28_86
; %bb.85:
	s_wait_loadcnt 0x1
	v_mov_b32_e32 v7, v6
	s_or_not1_b32 s0, vcc_lo, exec_lo
	s_delay_alu instid0(VALU_DEP_1)
	v_mov_b64_e32 v[2:3], v[6:7]
.LBB28_86:
	s_or_b32 exec_lo, exec_lo, s1
                                        ; implicit-def: $vgpr6
.LBB28_87:
	s_or_saveexec_b32 s1, s6
	v_mul_u64_e32 v[10:11], s[4:5], v[8:9]
	v_ashrrev_i32_e32 v1, 31, v15
	s_xor_b32 exec_lo, exec_lo, s1
	s_cbranch_execz .LBB28_89
; %bb.88:
	s_wait_loadcnt 0x1
	v_cmp_lt_f32_e32 vcc_lo, v6, v2
	s_or_b32 s0, s0, exec_lo
	v_cndmask_b32_e32 v2, v2, v6, vcc_lo
	v_cmp_lt_f32_e32 vcc_lo, v3, v6
	v_cndmask_b32_e32 v3, v3, v6, vcc_lo
.LBB28_89:
	s_or_b32 exec_lo, exec_lo, s1
	s_delay_alu instid0(VALU_DEP_2) | instskip(NEXT) | instid1(VALU_DEP_1)
	v_mul_lo_u32 v5, v11, s3
	v_sub_nc_u32_e32 v5, v8, v5
	s_wait_loadcnt 0x1
	s_delay_alu instid0(VALU_DEP_1) | instskip(SKIP_1) | instid1(VALU_DEP_2)
	v_subrev_nc_u32_e32 v6, s3, v5
	v_cmp_le_u32_e32 vcc_lo, s3, v5
	v_cndmask_b32_e32 v5, v5, v6, vcc_lo
	s_delay_alu instid0(VALU_DEP_1) | instskip(SKIP_1) | instid1(VALU_DEP_2)
	v_subrev_nc_u32_e32 v6, s3, v5
	v_cmp_le_u32_e32 vcc_lo, s3, v5
	v_cndmask_b32_e32 v5, v5, v6, vcc_lo
	s_delay_alu instid0(VALU_DEP_1) | instskip(NEXT) | instid1(VALU_DEP_1)
	v_xor_b32_e32 v5, v5, v1
	v_sub_nc_u32_e32 v1, v5, v1
	s_delay_alu instid0(VALU_DEP_1) | instskip(SKIP_1) | instid1(SALU_CYCLE_1)
	v_cmp_gt_i32_e32 vcc_lo, s18, v1
                                        ; implicit-def: $vgpr1
	s_and_b32 s1, s0, vcc_lo
	s_xor_b32 s1, s1, -1
	s_delay_alu instid0(SALU_CYCLE_1) | instskip(NEXT) | instid1(SALU_CYCLE_1)
	s_and_saveexec_b32 s3, s1
	s_xor_b32 s1, exec_lo, s3
	s_cbranch_execz .LBB28_93
; %bb.90:
	v_mov_b32_e32 v1, 1
	s_xor_b32 s3, s0, -1
	s_delay_alu instid0(SALU_CYCLE_1)
	s_and_saveexec_b32 s0, s3
	s_cbranch_execz .LBB28_92
; %bb.91:
	s_wait_loadcnt 0x0
	v_mov_b32_e32 v5, v4
	v_cndmask_b32_e64 v1, 0, 1, vcc_lo
	s_delay_alu instid0(VALU_DEP_2)
	v_mov_b64_e32 v[2:3], v[4:5]
.LBB28_92:
	s_or_b32 exec_lo, exec_lo, s0
                                        ; implicit-def: $vgpr4
.LBB28_93:
	s_and_not1_saveexec_b32 s0, s1
	s_cbranch_execz .LBB28_95
; %bb.94:
	s_wait_loadcnt 0x0
	s_delay_alu instid0(VALU_DEP_1)
	v_cmp_lt_f32_e32 vcc_lo, v3, v4
	v_dual_mov_b32 v1, 1 :: v_dual_cndmask_b32 v3, v3, v4, vcc_lo
	v_cmp_lt_f32_e32 vcc_lo, v4, v2
	v_cndmask_b32_e32 v2, v2, v4, vcc_lo
.LBB28_95:
	s_or_b32 exec_lo, exec_lo, s0
	s_delay_alu instid0(VALU_DEP_3) | instskip(SKIP_3) | instid1(VALU_DEP_3)
	v_and_b32_e32 v6, 0xff, v1
	v_and_b32_e32 v1, 1, v1
	v_mov_b32_dpp v5, v3 quad_perm:[1,0,3,2] row_mask:0xf bank_mask:0xf
	s_wait_loadcnt 0x0
	v_mov_b32_dpp v4, v6 quad_perm:[1,0,3,2] row_mask:0xf bank_mask:0xf
	s_delay_alu instid0(VALU_DEP_3) | instskip(NEXT) | instid1(VALU_DEP_2)
	v_cmp_eq_u32_e64 s0, 1, v1
                                        ; implicit-def: $vgpr1
	v_and_b32_e32 v4, 1, v4
	s_delay_alu instid0(VALU_DEP_1) | instskip(SKIP_2) | instid1(SALU_CYCLE_1)
	v_cmp_eq_u32_e32 vcc_lo, 1, v4
	v_mov_b32_dpp v4, v2 quad_perm:[1,0,3,2] row_mask:0xf bank_mask:0xf
	s_and_b32 s0, vcc_lo, s0
	s_xor_b32 s0, s0, -1
	s_delay_alu instid0(SALU_CYCLE_1) | instskip(NEXT) | instid1(SALU_CYCLE_1)
	s_and_saveexec_b32 s1, s0
	s_xor_b32 s0, exec_lo, s1
	s_cbranch_execz .LBB28_99
; %bb.96:
	v_mov_b32_e32 v1, 1
	s_xor_b32 s3, vcc_lo, -1
	s_delay_alu instid0(SALU_CYCLE_1)
	s_and_saveexec_b32 s1, s3
; %bb.97:
	v_mov_b64_e32 v[4:5], v[2:3]
	v_mov_b32_e32 v1, v6
; %bb.98:
	s_or_b32 exec_lo, exec_lo, s1
                                        ; implicit-def: $vgpr2_vgpr3
.LBB28_99:
	s_and_not1_saveexec_b32 s0, s0
; %bb.100:
	s_delay_alu instid0(VALU_DEP_2) | instskip(SKIP_1) | instid1(VALU_DEP_4)
	v_cmp_lt_f32_e32 vcc_lo, v5, v3
	v_dual_mov_b32 v1, 1 :: v_dual_cndmask_b32 v5, v5, v3, vcc_lo
	v_cmp_lt_f32_e32 vcc_lo, v2, v4
	v_cndmask_b32_e32 v4, v4, v2, vcc_lo
; %bb.101:
	s_or_b32 exec_lo, exec_lo, s0
	s_delay_alu instid0(VALU_DEP_3) | instskip(NEXT) | instid1(VALU_DEP_1)
	v_mov_b32_dpp v2, v1 quad_perm:[2,3,0,1] row_mask:0xf bank_mask:0xf
	v_and_b32_e32 v3, v2, v1
	v_and_b32_e32 v6, 1, v2
	v_mov_b32_dpp v2, v4 quad_perm:[2,3,0,1] row_mask:0xf bank_mask:0xf
	s_delay_alu instid0(VALU_DEP_3) | instskip(SKIP_1) | instid1(VALU_DEP_4)
	v_and_b32_e32 v7, 1, v3
	v_mov_b32_dpp v3, v5 quad_perm:[2,3,0,1] row_mask:0xf bank_mask:0xf
	v_cmp_ne_u32_e32 vcc_lo, 1, v6
                                        ; implicit-def: $vgpr6
	s_delay_alu instid0(VALU_DEP_3) | instskip(SKIP_1) | instid1(SALU_CYCLE_1)
	v_cmp_ne_u32_e64 s0, 1, v7
	s_and_saveexec_b32 s1, s0
	s_xor_b32 s0, exec_lo, s1
	s_cbranch_execz .LBB28_105
; %bb.102:
	v_mov_b32_e32 v6, 1
	s_and_saveexec_b32 s1, vcc_lo
; %bb.103:
	v_mov_b64_e32 v[2:3], v[4:5]
	v_mov_b32_e32 v6, v1
; %bb.104:
	s_or_b32 exec_lo, exec_lo, s1
                                        ; implicit-def: $vgpr4_vgpr5
.LBB28_105:
	s_and_not1_saveexec_b32 s0, s0
; %bb.106:
	s_delay_alu instid0(VALU_DEP_2) | instskip(SKIP_1) | instid1(VALU_DEP_4)
	v_cmp_lt_f32_e32 vcc_lo, v3, v5
	v_dual_mov_b32 v6, 1 :: v_dual_cndmask_b32 v3, v3, v5
	v_cmp_lt_f32_e32 vcc_lo, v4, v2
	v_cndmask_b32_e32 v2, v2, v4, vcc_lo
; %bb.107:
	s_or_b32 exec_lo, exec_lo, s0
	s_delay_alu instid0(VALU_DEP_3) | instskip(SKIP_1) | instid1(VALU_DEP_2)
	v_mov_b32_dpp v1, v6 row_ror:4 row_mask:0xf bank_mask:0xf
	v_mov_b32_dpp v5, v3 row_ror:4 row_mask:0xf bank_mask:0xf
	v_and_b32_e32 v4, v1, v6
	v_and_b32_e32 v1, 1, v1
	s_delay_alu instid0(VALU_DEP_2) | instskip(SKIP_1) | instid1(VALU_DEP_3)
	v_and_b32_e32 v7, 1, v4
	v_mov_b32_dpp v4, v2 row_ror:4 row_mask:0xf bank_mask:0xf
	v_cmp_ne_u32_e32 vcc_lo, 1, v1
                                        ; implicit-def: $vgpr1
	s_delay_alu instid0(VALU_DEP_3) | instskip(SKIP_1) | instid1(SALU_CYCLE_1)
	v_cmp_ne_u32_e64 s0, 1, v7
	s_and_saveexec_b32 s1, s0
	s_xor_b32 s0, exec_lo, s1
	s_cbranch_execz .LBB28_111
; %bb.108:
	v_mov_b32_e32 v1, 1
	s_and_saveexec_b32 s1, vcc_lo
; %bb.109:
	v_mov_b64_e32 v[4:5], v[2:3]
	v_mov_b32_e32 v1, v6
; %bb.110:
	s_or_b32 exec_lo, exec_lo, s1
                                        ; implicit-def: $vgpr2_vgpr3
.LBB28_111:
	s_and_not1_saveexec_b32 s0, s0
; %bb.112:
	s_delay_alu instid0(VALU_DEP_2) | instskip(SKIP_1) | instid1(VALU_DEP_4)
	v_cmp_lt_f32_e32 vcc_lo, v5, v3
	v_dual_mov_b32 v1, 1 :: v_dual_cndmask_b32 v5, v5, v3, vcc_lo
	v_cmp_lt_f32_e32 vcc_lo, v2, v4
	v_cndmask_b32_e32 v4, v4, v2, vcc_lo
; %bb.113:
	s_or_b32 exec_lo, exec_lo, s0
	s_delay_alu instid0(VALU_DEP_3) | instskip(NEXT) | instid1(VALU_DEP_1)
	v_mov_b32_dpp v2, v1 row_ror:8 row_mask:0xf bank_mask:0xf
	v_and_b32_e32 v3, v2, v1
	v_and_b32_e32 v6, 1, v2
	v_mov_b32_dpp v2, v4 row_ror:8 row_mask:0xf bank_mask:0xf
	s_delay_alu instid0(VALU_DEP_3) | instskip(SKIP_1) | instid1(VALU_DEP_4)
	v_and_b32_e32 v7, 1, v3
	v_mov_b32_dpp v3, v5 row_ror:8 row_mask:0xf bank_mask:0xf
	v_cmp_ne_u32_e32 vcc_lo, 1, v6
                                        ; implicit-def: $vgpr6
	s_delay_alu instid0(VALU_DEP_3) | instskip(SKIP_1) | instid1(SALU_CYCLE_1)
	v_cmp_ne_u32_e64 s0, 1, v7
	s_and_saveexec_b32 s1, s0
	s_xor_b32 s0, exec_lo, s1
	s_cbranch_execz .LBB28_117
; %bb.114:
	v_mov_b32_e32 v6, 1
	s_and_saveexec_b32 s1, vcc_lo
; %bb.115:
	v_mov_b64_e32 v[2:3], v[4:5]
	v_mov_b32_e32 v6, v1
; %bb.116:
	s_or_b32 exec_lo, exec_lo, s1
                                        ; implicit-def: $vgpr4_vgpr5
.LBB28_117:
	s_and_not1_saveexec_b32 s0, s0
; %bb.118:
	s_delay_alu instid0(VALU_DEP_2) | instskip(SKIP_1) | instid1(VALU_DEP_4)
	v_cmp_lt_f32_e32 vcc_lo, v3, v5
	v_dual_mov_b32 v6, 1 :: v_dual_cndmask_b32 v3, v3, v5
	v_cmp_lt_f32_e32 vcc_lo, v4, v2
	v_cndmask_b32_e32 v2, v2, v4, vcc_lo
; %bb.119:
	s_or_b32 exec_lo, exec_lo, s0
	ds_swizzle_b32 v1, v6 offset:swizzle(BROADCAST,32,15)
	ds_swizzle_b32 v4, v2 offset:swizzle(BROADCAST,32,15)
	;; [unrolled: 1-line block ×3, first 2 shown]
	s_wait_dscnt 0x2
	v_and_b32_e32 v7, v1, v6
	v_and_b32_e32 v1, 1, v1
	s_delay_alu instid0(VALU_DEP_2) | instskip(NEXT) | instid1(VALU_DEP_2)
	v_and_b32_e32 v7, 1, v7
	v_cmp_ne_u32_e32 vcc_lo, 1, v1
                                        ; implicit-def: $vgpr1
	s_delay_alu instid0(VALU_DEP_2) | instskip(SKIP_1) | instid1(SALU_CYCLE_1)
	v_cmp_ne_u32_e64 s0, 1, v7
	s_and_saveexec_b32 s1, s0
	s_xor_b32 s0, exec_lo, s1
	s_cbranch_execz .LBB28_123
; %bb.120:
	v_mov_b32_e32 v1, 1
	s_and_saveexec_b32 s1, vcc_lo
	s_cbranch_execz .LBB28_122
; %bb.121:
	s_wait_dscnt 0x0
	v_mov_b64_e32 v[4:5], v[2:3]
	v_mov_b32_e32 v1, v6
.LBB28_122:
	s_or_b32 exec_lo, exec_lo, s1
                                        ; implicit-def: $vgpr2_vgpr3
.LBB28_123:
	s_and_not1_saveexec_b32 s0, s0
	s_cbranch_execz .LBB28_125
; %bb.124:
	s_wait_dscnt 0x0
	s_delay_alu instid0(VALU_DEP_2)
	v_cmp_lt_f32_e32 vcc_lo, v5, v3
	v_dual_mov_b32 v1, 1 :: v_dual_cndmask_b32 v5, v5, v3, vcc_lo
	v_cmp_lt_f32_e32 vcc_lo, v2, v4
	v_cndmask_b32_e32 v4, v4, v2, vcc_lo
.LBB28_125:
	s_or_b32 exec_lo, exec_lo, s0
	v_mov_b32_e32 v3, 0
	v_mbcnt_lo_u32_b32 v6, -1, 0
	s_mov_b32 s0, exec_lo
	ds_bpermute_b32 v1, v3, v1 offset:124
	s_wait_dscnt 0x2
	ds_bpermute_b32 v2, v3, v4 offset:124
	s_wait_dscnt 0x2
	ds_bpermute_b32 v3, v3, v5 offset:124
	v_cmpx_eq_u32_e32 0, v6
	s_cbranch_execz .LBB28_127
; %bb.126:
	v_lshrrev_b32_e32 v4, 5, v0
	s_delay_alu instid0(VALU_DEP_1)
	v_mul_u32_u24_e32 v4, 12, v4
	s_wait_dscnt 0x2
	ds_store_b8 v4, v1 offset:48
	s_wait_dscnt 0x1
	ds_store_2addr_b32 v4, v2, v3 offset0:13 offset1:14
.LBB28_127:
	s_or_b32 exec_lo, exec_lo, s0
	s_delay_alu instid0(SALU_CYCLE_1)
	s_mov_b32 s0, exec_lo
	s_wait_dscnt 0x0
	s_barrier_signal -1
	s_barrier_wait -1
	v_cmpx_gt_u32_e32 32, v0
	s_cbranch_execz .LBB28_141
; %bb.128:
	v_and_b32_e32 v1, 3, v6
	s_mov_b32 s1, exec_lo
	s_delay_alu instid0(VALU_DEP_1)
	v_mul_u32_u24_e32 v2, 12, v1
	v_cmp_ne_u32_e32 vcc_lo, 3, v1
	ds_load_u8 v8, v2 offset:48
	v_add_co_ci_u32_e64 v1, null, 0, v6, vcc_lo
	ds_load_2addr_b32 v[2:3], v2 offset0:13 offset1:14
	v_lshlrev_b32_e32 v5, 2, v1
	s_wait_dscnt 0x1
	v_and_b32_e32 v4, 0xff, v8
	ds_bpermute_b32 v1, v5, v4
	s_wait_dscnt 0x0
	v_and_b32_e32 v7, v8, v1
	ds_bpermute_b32 v4, v5, v2
	ds_bpermute_b32 v5, v5, v3
	v_and_b32_e32 v7, 1, v7
	s_delay_alu instid0(VALU_DEP_1)
	v_cmpx_eq_u32_e32 1, v7
	s_xor_b32 s1, exec_lo, s1
	s_cbranch_execz .LBB28_130
; %bb.129:
	s_wait_dscnt 0x0
	v_cmp_gt_f32_e32 vcc_lo, v5, v3
                                        ; implicit-def: $vgpr1
                                        ; implicit-def: $vgpr8
	v_cndmask_b32_e32 v5, v3, v5, vcc_lo
	v_cmp_gt_f32_e32 vcc_lo, v2, v4
	v_cndmask_b32_e32 v4, v2, v4, vcc_lo
                                        ; implicit-def: $vgpr2_vgpr3
.LBB28_130:
	s_or_saveexec_b32 s1, s1
	v_dual_mov_b32 v7, 1 :: v_dual_lshlrev_b32 v6, 2, v6
	s_xor_b32 exec_lo, exec_lo, s1
	s_cbranch_execz .LBB28_134
; %bb.131:
	v_and_b32_e32 v7, 1, v8
	s_mov_b32 s3, exec_lo
	s_delay_alu instid0(VALU_DEP_1)
	v_cmpx_eq_u32_e32 1, v7
	s_cbranch_execz .LBB28_133
; %bb.132:
	s_wait_dscnt 0x0
	v_mov_b64_e32 v[4:5], v[2:3]
	v_mov_b32_e32 v1, 1
.LBB28_133:
	s_or_b32 exec_lo, exec_lo, s3
	s_delay_alu instid0(VALU_DEP_1)
	v_mov_b32_e32 v7, v1
.LBB28_134:
	s_or_b32 exec_lo, exec_lo, s1
	s_delay_alu instid0(VALU_DEP_1)
	v_and_b32_e32 v1, 0xff, v7
	v_or_b32_e32 v3, 8, v6
	s_mov_b32 s1, exec_lo
	ds_bpermute_b32 v6, v3, v1
	s_wait_dscnt 0x2
	ds_bpermute_b32 v2, v3, v4
	s_wait_dscnt 0x2
	;; [unrolled: 2-line block ×3, first 2 shown]
	v_and_b32_e32 v1, v7, v6
	s_delay_alu instid0(VALU_DEP_1) | instskip(NEXT) | instid1(VALU_DEP_1)
	v_and_b32_e32 v1, 1, v1
	v_cmpx_eq_u32_e32 1, v1
	s_xor_b32 s1, exec_lo, s1
	s_cbranch_execz .LBB28_136
; %bb.135:
	s_wait_dscnt 0x0
	v_cmp_gt_f32_e32 vcc_lo, v3, v5
                                        ; implicit-def: $vgpr6
                                        ; implicit-def: $vgpr7
	v_cndmask_b32_e32 v3, v5, v3, vcc_lo
	v_cmp_gt_f32_e32 vcc_lo, v4, v2
	v_cndmask_b32_e32 v2, v4, v2, vcc_lo
                                        ; implicit-def: $vgpr4_vgpr5
.LBB28_136:
	s_or_saveexec_b32 s1, s1
	v_mov_b32_e32 v1, 1
	s_xor_b32 exec_lo, exec_lo, s1
	s_cbranch_execz .LBB28_140
; %bb.137:
	v_and_b32_e32 v1, 1, v7
	s_mov_b32 s3, exec_lo
	s_delay_alu instid0(VALU_DEP_1)
	v_cmpx_eq_u32_e32 1, v1
	s_cbranch_execz .LBB28_139
; %bb.138:
	s_wait_dscnt 0x0
	v_mov_b64_e32 v[2:3], v[4:5]
	v_mov_b32_e32 v6, 1
.LBB28_139:
	s_or_b32 exec_lo, exec_lo, s3
	s_delay_alu instid0(VALU_DEP_1)
	v_mov_b32_e32 v1, v6
.LBB28_140:
	s_or_b32 exec_lo, exec_lo, s1
.LBB28_141:
	s_delay_alu instid0(SALU_CYCLE_1)
	s_or_b32 exec_lo, exec_lo, s0
	s_mov_b32 s0, 0
	s_branch .LBB28_239
.LBB28_142:
	s_mov_b32 s8, 0
                                        ; implicit-def: $vgpr4_vgpr5
                                        ; implicit-def: $vgpr6
                                        ; implicit-def: $sgpr26_sgpr27
	s_cbranch_execnz .LBB28_779
	s_branch .LBB28_970
.LBB28_143:
	s_mov_b32 s8, 0
                                        ; implicit-def: $vgpr4_vgpr5
                                        ; implicit-def: $vgpr6
                                        ; implicit-def: $sgpr26_sgpr27
	s_cbranch_execnz .LBB28_607
	s_branch .LBB28_675
.LBB28_144:
	s_mov_b32 s31, -1
.LBB28_145:
	s_mov_b32 s8, 0
                                        ; implicit-def: $vgpr4_vgpr5
                                        ; implicit-def: $vgpr6
                                        ; implicit-def: $sgpr26_sgpr27
	s_and_b32 vcc_lo, exec_lo, s31
	s_cbranch_vccz .LBB28_486
.LBB28_146:
	s_cmp_eq_u32 s28, 8
	s_cbranch_scc0 .LBB28_237
; %bb.147:
	s_bfe_u32 s0, ttmp6, 0x4000c
	s_and_b32 s1, ttmp6, 15
	s_add_co_i32 s0, s0, 1
	s_getreg_b32 s2, hwreg(HW_REG_IB_STS2, 6, 4)
	s_mul_i32 s0, ttmp9, s0
	s_mov_b32 s27, 0
	s_add_co_i32 s1, s1, s0
	s_cmp_eq_u32 s2, 0
	s_mov_b32 s3, s27
	s_cselect_b32 s26, ttmp9, s1
	s_lshr_b64 s[0:1], s[20:21], 10
	s_lshl_b32 s2, s26, 10
	s_delay_alu instid0(SALU_CYCLE_1)
	s_lshl_b64 s[4:5], s[2:3], 2
	s_add_co_i32 s9, s29, s2
	s_cmp_lg_u64 s[0:1], s[26:27]
	s_add_nc_u64 s[6:7], s[16:17], s[4:5]
	s_cbranch_scc0 .LBB28_286
; %bb.148:
	s_wait_dscnt 0x1
	s_clause 0x7
	global_load_b32 v2, v0, s[6:7] scale_offset
	global_load_b32 v16, v0, s[6:7] offset:512 scale_offset
	global_load_b32 v15, v0, s[6:7] offset:1024 scale_offset
	global_load_b32 v14, v0, s[6:7] offset:1536 scale_offset
	global_load_b32 v7, v0, s[6:7] offset:2048 scale_offset
	global_load_b32 v1, v0, s[6:7] offset:2560 scale_offset
	global_load_b32 v6, v0, s[6:7] offset:3072 scale_offset
	global_load_b32 v4, v0, s[6:7] offset:3584 scale_offset
	s_abs_i32 s3, s19
	s_wait_dscnt 0x0
	v_add_nc_u32_e32 v5, s9, v0
	s_cvt_f32_u32 s0, s3
	s_sub_co_i32 s1, 0, s3
	s_mov_b32 s5, s27
	s_delay_alu instid0(SALU_CYCLE_1) | instskip(SKIP_2) | instid1(VALU_DEP_1)
	v_rcp_iflag_f32_e32 v3, s0
	v_add_nc_u32_e32 v8, 0x80, v5
	v_sub_nc_u32_e32 v9, 0xffffff80, v5
	v_max_i32_e32 v9, v8, v9
	s_delay_alu instid0(TRANS32_DEP_1) | instskip(SKIP_2) | instid1(SALU_CYCLE_3)
	v_readfirstlane_b32 s0, v3
	v_add_nc_u32_e32 v17, 0x180, v5
	s_mul_f32 s0, s0, 0x4f7ffffe
	s_cvt_u32_f32 s0, s0
	s_delay_alu instid0(SALU_CYCLE_3) | instskip(NEXT) | instid1(SALU_CYCLE_1)
	s_mul_i32 s1, s1, s0
	s_mul_hi_u32 s1, s0, s1
	s_delay_alu instid0(SALU_CYCLE_1) | instskip(NEXT) | instid1(SALU_CYCLE_1)
	s_add_co_i32 s4, s0, s1
	v_mul_hi_u32 v11, v9, s4
	s_delay_alu instid0(VALU_DEP_1) | instskip(NEXT) | instid1(VALU_DEP_1)
	v_mul_lo_u32 v11, v11, s3
	v_dual_sub_nc_u32 v3, 0, v5 :: v_dual_sub_nc_u32 v9, v9, v11
	s_delay_alu instid0(VALU_DEP_1) | instskip(NEXT) | instid1(VALU_DEP_2)
	v_max_i32_e32 v3, v5, v3
	v_subrev_nc_u32_e32 v11, s3, v9
	s_delay_alu instid0(VALU_DEP_2) | instskip(NEXT) | instid1(VALU_DEP_1)
	v_mul_hi_u32 v10, v3, s4
	v_mul_lo_u32 v10, v10, s3
	s_delay_alu instid0(VALU_DEP_1) | instskip(NEXT) | instid1(VALU_DEP_1)
	v_sub_nc_u32_e32 v3, v3, v10
	v_subrev_nc_u32_e32 v10, s3, v3
	v_cmp_le_u32_e32 vcc_lo, s3, v3
	s_delay_alu instid0(VALU_DEP_2) | instskip(SKIP_2) | instid1(VALU_DEP_3)
	v_cndmask_b32_e32 v3, v3, v10, vcc_lo
	v_cmp_le_u32_e32 vcc_lo, s3, v9
	v_ashrrev_i32_e32 v8, 31, v8
	v_subrev_nc_u32_e32 v10, s3, v3
	v_cndmask_b32_e32 v9, v9, v11, vcc_lo
	v_cmp_le_u32_e32 vcc_lo, s3, v3
	v_ashrrev_i32_e32 v11, 31, v5
	s_delay_alu instid0(VALU_DEP_3) | instskip(SKIP_2) | instid1(VALU_DEP_2)
	v_subrev_nc_u32_e32 v12, s3, v9
	v_cndmask_b32_e32 v3, v3, v10, vcc_lo
	v_cmp_le_u32_e32 vcc_lo, s3, v9
	v_dual_cndmask_b32 v9, v9, v12, vcc_lo :: v_dual_bitop2_b32 v3, v3, v11 bitop3:0x14
	s_delay_alu instid0(VALU_DEP_1) | instskip(SKIP_2) | instid1(VALU_DEP_3)
	v_dual_sub_nc_u32 v10, v3, v11 :: v_dual_bitop2_b32 v9, v9, v8 bitop3:0x14
	v_add_nc_u32_e32 v3, 0x100, v5
	v_sub_nc_u32_e32 v11, 0xffffff00, v5
	v_cmp_le_i32_e64 s0, s18, v10
	s_delay_alu instid0(VALU_DEP_4) | instskip(NEXT) | instid1(VALU_DEP_3)
	v_dual_mov_b32 v9, 0 :: v_dual_sub_nc_u32 v8, v9, v8
	v_max_i32_e32 v10, v3, v11
	s_delay_alu instid0(VALU_DEP_2) | instskip(SKIP_1) | instid1(VALU_DEP_4)
	v_cmp_le_i32_e64 s1, s18, v8
	v_cmp_gt_i32_e32 vcc_lo, s18, v8
	v_dual_mov_b32 v11, v9 :: v_dual_sub_nc_u32 v8, 0xfffffe80, v5
	s_or_b32 s10, s0, s1
                                        ; implicit-def: $sgpr1
	s_wait_xcnt 0x0
	s_and_saveexec_b32 s11, s10
	s_delay_alu instid0(SALU_CYCLE_1)
	s_xor_b32 s10, exec_lo, s11
	s_cbranch_execz .LBB28_152
; %bb.149:
	s_mov_b32 s1, -1
	s_and_saveexec_b32 s11, s0
	s_cbranch_execz .LBB28_151
; %bb.150:
	s_wait_loadcnt 0x6
	v_mov_b32_e32 v2, v16
	s_or_not1_b32 s1, vcc_lo, exec_lo
.LBB28_151:
	s_or_b32 exec_lo, exec_lo, s11
                                        ; implicit-def: $vgpr16
.LBB28_152:
	s_or_saveexec_b32 s0, s10
	v_mul_u64_e32 v[12:13], s[4:5], v[10:11]
	v_dual_ashrrev_i32 v11, 31, v3 :: v_dual_max_i32 v8, v17, v8
	s_wait_loadcnt 0x7
	v_mov_b32_e32 v3, v2
	s_xor_b32 exec_lo, exec_lo, s0
	s_cbranch_execz .LBB28_154
; %bb.153:
	s_wait_loadcnt 0x6
	v_cmp_lt_f32_e32 vcc_lo, v16, v2
	s_or_b32 s1, s1, exec_lo
	v_cndmask_b32_e32 v12, v2, v16, vcc_lo
	v_cmp_lt_f32_e32 vcc_lo, v2, v16
	s_delay_alu instid0(VALU_DEP_2)
	v_dual_cndmask_b32 v3, v2, v16 :: v_dual_mov_b32 v2, v12
.LBB28_154:
	s_or_b32 exec_lo, exec_lo, s0
	s_delay_alu instid0(VALU_DEP_3) | instskip(SKIP_3) | instid1(VALU_DEP_2)
	v_mul_lo_u32 v12, v13, s3
	s_wait_loadcnt 0x6
	v_add_nc_u32_e32 v16, 0x200, v5
	s_mov_b32 s0, -1
	v_sub_nc_u32_e32 v10, v10, v12
	s_delay_alu instid0(VALU_DEP_1) | instskip(SKIP_1) | instid1(VALU_DEP_2)
	v_subrev_nc_u32_e32 v12, s3, v10
	v_cmp_le_u32_e32 vcc_lo, s3, v10
	v_cndmask_b32_e32 v10, v10, v12, vcc_lo
	s_delay_alu instid0(VALU_DEP_1) | instskip(SKIP_1) | instid1(VALU_DEP_2)
	v_subrev_nc_u32_e32 v12, s3, v10
	v_cmp_le_u32_e32 vcc_lo, s3, v10
	v_cndmask_b32_e32 v10, v10, v12, vcc_lo
	v_sub_nc_u32_e32 v12, 0xfffffe00, v5
	s_delay_alu instid0(VALU_DEP_2) | instskip(NEXT) | instid1(VALU_DEP_1)
	v_xor_b32_e32 v10, v10, v11
	v_sub_nc_u32_e32 v10, v10, v11
	s_delay_alu instid0(VALU_DEP_1) | instskip(SKIP_1) | instid1(SALU_CYCLE_1)
	v_cmp_gt_i32_e32 vcc_lo, s18, v10
	s_and_b32 s10, s1, vcc_lo
	s_xor_b32 s10, s10, -1
	s_delay_alu instid0(SALU_CYCLE_1) | instskip(NEXT) | instid1(SALU_CYCLE_1)
	s_and_saveexec_b32 s11, s10
	s_xor_b32 s10, exec_lo, s11
	s_cbranch_execz .LBB28_158
; %bb.155:
	s_xor_b32 s11, s1, -1
	s_delay_alu instid0(SALU_CYCLE_1)
	s_and_saveexec_b32 s1, s11
	s_cbranch_execz .LBB28_157
; %bb.156:
	s_wait_loadcnt 0x5
	v_dual_mov_b32 v3, v15 :: v_dual_mov_b32 v2, v15
	s_or_not1_b32 s0, vcc_lo, exec_lo
.LBB28_157:
	s_or_b32 exec_lo, exec_lo, s1
                                        ; implicit-def: $vgpr15
.LBB28_158:
	s_or_saveexec_b32 s1, s10
	v_mul_u64_e32 v[10:11], s[4:5], v[8:9]
	v_dual_ashrrev_i32 v12, 31, v17 :: v_dual_max_i32 v10, v16, v12
	s_xor_b32 exec_lo, exec_lo, s1
	s_cbranch_execz .LBB28_160
; %bb.159:
	s_wait_loadcnt 0x5
	v_cmp_lt_f32_e32 vcc_lo, v15, v2
	s_or_b32 s0, s0, exec_lo
	v_cndmask_b32_e32 v2, v2, v15, vcc_lo
	v_cmp_lt_f32_e32 vcc_lo, v3, v15
	v_cndmask_b32_e32 v3, v3, v15, vcc_lo
.LBB28_160:
	s_or_b32 exec_lo, exec_lo, s1
	s_delay_alu instid0(VALU_DEP_2) | instskip(SKIP_3) | instid1(VALU_DEP_2)
	v_mul_lo_u32 v11, v11, s3
	s_mov_b32 s1, -1
	s_wait_loadcnt 0x5
	v_add_nc_u32_e32 v15, 0x280, v5
	v_sub_nc_u32_e32 v8, v8, v11
	s_delay_alu instid0(VALU_DEP_1) | instskip(SKIP_1) | instid1(VALU_DEP_2)
	v_subrev_nc_u32_e32 v11, s3, v8
	v_cmp_le_u32_e32 vcc_lo, s3, v8
	v_cndmask_b32_e32 v8, v8, v11, vcc_lo
	s_delay_alu instid0(VALU_DEP_1) | instskip(SKIP_1) | instid1(VALU_DEP_2)
	v_subrev_nc_u32_e32 v11, s3, v8
	v_cmp_le_u32_e32 vcc_lo, s3, v8
	v_dual_cndmask_b32 v8, v8, v11 :: v_dual_mov_b32 v11, v9
	s_delay_alu instid0(VALU_DEP_1) | instskip(NEXT) | instid1(VALU_DEP_1)
	v_xor_b32_e32 v8, v8, v12
	v_sub_nc_u32_e32 v8, v8, v12
	s_delay_alu instid0(VALU_DEP_1) | instskip(SKIP_2) | instid1(SALU_CYCLE_1)
	v_cmp_gt_i32_e32 vcc_lo, s18, v8
	v_sub_nc_u32_e32 v8, 0xfffffd80, v5
	s_and_b32 s10, s0, vcc_lo
	s_xor_b32 s10, s10, -1
	s_delay_alu instid0(SALU_CYCLE_1) | instskip(NEXT) | instid1(SALU_CYCLE_1)
	s_and_saveexec_b32 s11, s10
	s_xor_b32 s10, exec_lo, s11
	s_cbranch_execz .LBB28_164
; %bb.161:
	s_xor_b32 s11, s0, -1
	s_delay_alu instid0(SALU_CYCLE_1)
	s_and_saveexec_b32 s0, s11
	s_cbranch_execz .LBB28_163
; %bb.162:
	s_wait_loadcnt 0x4
	v_dual_mov_b32 v3, v14 :: v_dual_mov_b32 v2, v14
	s_or_not1_b32 s1, vcc_lo, exec_lo
.LBB28_163:
	s_or_b32 exec_lo, exec_lo, s0
                                        ; implicit-def: $vgpr14
.LBB28_164:
	s_or_saveexec_b32 s0, s10
	v_mul_u64_e32 v[12:13], s[4:5], v[10:11]
	v_max_i32_e32 v8, v15, v8
	v_ashrrev_i32_e32 v11, 31, v16
	s_xor_b32 exec_lo, exec_lo, s0
	s_cbranch_execz .LBB28_166
; %bb.165:
	s_wait_loadcnt 0x4
	v_cmp_lt_f32_e32 vcc_lo, v14, v2
	s_or_b32 s1, s1, exec_lo
	v_cndmask_b32_e32 v2, v2, v14, vcc_lo
	v_cmp_lt_f32_e32 vcc_lo, v3, v14
	v_cndmask_b32_e32 v3, v3, v14, vcc_lo
.LBB28_166:
	s_or_b32 exec_lo, exec_lo, s0
	s_delay_alu instid0(VALU_DEP_3) | instskip(SKIP_3) | instid1(VALU_DEP_2)
	v_mul_lo_u32 v12, v13, s3
	s_wait_loadcnt 0x4
	v_add_nc_u32_e32 v14, 0x300, v5
	s_mov_b32 s0, -1
	v_sub_nc_u32_e32 v10, v10, v12
	s_delay_alu instid0(VALU_DEP_1) | instskip(SKIP_1) | instid1(VALU_DEP_2)
	v_subrev_nc_u32_e32 v12, s3, v10
	v_cmp_le_u32_e32 vcc_lo, s3, v10
	v_cndmask_b32_e32 v10, v10, v12, vcc_lo
	s_delay_alu instid0(VALU_DEP_1) | instskip(SKIP_1) | instid1(VALU_DEP_2)
	v_subrev_nc_u32_e32 v12, s3, v10
	v_cmp_le_u32_e32 vcc_lo, s3, v10
	v_cndmask_b32_e32 v10, v10, v12, vcc_lo
	v_sub_nc_u32_e32 v12, 0xfffffd00, v5
	s_delay_alu instid0(VALU_DEP_2) | instskip(NEXT) | instid1(VALU_DEP_1)
	v_xor_b32_e32 v10, v10, v11
	v_sub_nc_u32_e32 v10, v10, v11
	s_delay_alu instid0(VALU_DEP_1) | instskip(SKIP_1) | instid1(SALU_CYCLE_1)
	v_cmp_gt_i32_e32 vcc_lo, s18, v10
	s_and_b32 s10, s1, vcc_lo
	s_xor_b32 s10, s10, -1
	s_delay_alu instid0(SALU_CYCLE_1) | instskip(NEXT) | instid1(SALU_CYCLE_1)
	s_and_saveexec_b32 s11, s10
	s_xor_b32 s10, exec_lo, s11
	s_cbranch_execz .LBB28_170
; %bb.167:
	s_xor_b32 s11, s1, -1
	s_delay_alu instid0(SALU_CYCLE_1)
	s_and_saveexec_b32 s1, s11
	s_cbranch_execz .LBB28_169
; %bb.168:
	s_wait_loadcnt 0x3
	v_dual_mov_b32 v3, v7 :: v_dual_mov_b32 v2, v7
	s_or_not1_b32 s0, vcc_lo, exec_lo
.LBB28_169:
	s_or_b32 exec_lo, exec_lo, s1
                                        ; implicit-def: $vgpr7
.LBB28_170:
	s_or_saveexec_b32 s1, s10
	v_mul_u64_e32 v[10:11], s[4:5], v[8:9]
	v_dual_ashrrev_i32 v12, 31, v15 :: v_dual_max_i32 v10, v14, v12
	s_xor_b32 exec_lo, exec_lo, s1
	s_cbranch_execz .LBB28_172
; %bb.171:
	s_wait_loadcnt 0x3
	v_cmp_lt_f32_e32 vcc_lo, v7, v2
	s_or_b32 s0, s0, exec_lo
	v_cndmask_b32_e32 v2, v2, v7, vcc_lo
	v_cmp_lt_f32_e32 vcc_lo, v3, v7
	v_cndmask_b32_e32 v3, v3, v7, vcc_lo
.LBB28_172:
	s_or_b32 exec_lo, exec_lo, s1
	s_wait_loadcnt 0x3
	s_delay_alu instid0(VALU_DEP_2) | instskip(SKIP_3) | instid1(VALU_DEP_3)
	v_mul_lo_u32 v7, v11, s3
	v_add_nc_u32_e32 v15, 0x380, v5
	v_sub_nc_u32_e32 v5, 0xfffffc80, v5
	s_mov_b32 s1, -1
	v_dual_mov_b32 v11, v9 :: v_dual_sub_nc_u32 v7, v8, v7
	s_delay_alu instid0(VALU_DEP_1) | instskip(SKIP_1) | instid1(VALU_DEP_2)
	v_subrev_nc_u32_e32 v8, s3, v7
	v_cmp_le_u32_e32 vcc_lo, s3, v7
	v_cndmask_b32_e32 v7, v7, v8, vcc_lo
	s_delay_alu instid0(VALU_DEP_1) | instskip(SKIP_1) | instid1(VALU_DEP_2)
	v_subrev_nc_u32_e32 v8, s3, v7
	v_cmp_le_u32_e32 vcc_lo, s3, v7
	v_cndmask_b32_e32 v7, v7, v8, vcc_lo
	s_delay_alu instid0(VALU_DEP_1) | instskip(NEXT) | instid1(VALU_DEP_1)
	v_xor_b32_e32 v7, v7, v12
	v_sub_nc_u32_e32 v7, v7, v12
	s_delay_alu instid0(VALU_DEP_1) | instskip(SKIP_1) | instid1(SALU_CYCLE_1)
	v_cmp_gt_i32_e32 vcc_lo, s18, v7
	s_and_b32 s10, s0, vcc_lo
	s_xor_b32 s10, s10, -1
	s_delay_alu instid0(SALU_CYCLE_1) | instskip(NEXT) | instid1(SALU_CYCLE_1)
	s_and_saveexec_b32 s11, s10
	s_xor_b32 s10, exec_lo, s11
	s_cbranch_execz .LBB28_176
; %bb.173:
	s_xor_b32 s11, s0, -1
	s_delay_alu instid0(SALU_CYCLE_1)
	s_and_saveexec_b32 s0, s11
	s_cbranch_execz .LBB28_175
; %bb.174:
	s_wait_loadcnt 0x2
	v_dual_mov_b32 v3, v1 :: v_dual_mov_b32 v2, v1
	s_or_not1_b32 s1, vcc_lo, exec_lo
.LBB28_175:
	s_or_b32 exec_lo, exec_lo, s0
                                        ; implicit-def: $vgpr1
.LBB28_176:
	s_or_saveexec_b32 s0, s10
	v_mul_u64_e32 v[12:13], s[4:5], v[10:11]
	v_dual_ashrrev_i32 v5, 31, v14 :: v_dual_max_i32 v8, v15, v5
	s_xor_b32 exec_lo, exec_lo, s0
	s_cbranch_execz .LBB28_178
; %bb.177:
	s_wait_loadcnt 0x2
	v_cmp_lt_f32_e32 vcc_lo, v1, v2
	s_or_b32 s1, s1, exec_lo
	v_cndmask_b32_e32 v2, v2, v1, vcc_lo
	v_cmp_lt_f32_e32 vcc_lo, v3, v1
	v_cndmask_b32_e32 v3, v3, v1, vcc_lo
.LBB28_178:
	s_or_b32 exec_lo, exec_lo, s0
	s_wait_loadcnt 0x2
	s_delay_alu instid0(VALU_DEP_2) | instskip(SKIP_1) | instid1(VALU_DEP_1)
	v_mul_lo_u32 v1, v13, s3
	s_mov_b32 s0, -1
	v_sub_nc_u32_e32 v1, v10, v1
	s_delay_alu instid0(VALU_DEP_1) | instskip(SKIP_1) | instid1(VALU_DEP_2)
	v_subrev_nc_u32_e32 v7, s3, v1
	v_cmp_le_u32_e32 vcc_lo, s3, v1
	v_cndmask_b32_e32 v1, v1, v7, vcc_lo
	s_delay_alu instid0(VALU_DEP_1) | instskip(SKIP_1) | instid1(VALU_DEP_2)
	v_subrev_nc_u32_e32 v7, s3, v1
	v_cmp_le_u32_e32 vcc_lo, s3, v1
	v_cndmask_b32_e32 v1, v1, v7, vcc_lo
	s_delay_alu instid0(VALU_DEP_1) | instskip(NEXT) | instid1(VALU_DEP_1)
	v_xor_b32_e32 v1, v1, v5
	v_sub_nc_u32_e32 v1, v1, v5
	s_delay_alu instid0(VALU_DEP_1) | instskip(SKIP_1) | instid1(SALU_CYCLE_1)
	v_cmp_gt_i32_e32 vcc_lo, s18, v1
	s_and_b32 s10, s1, vcc_lo
	s_xor_b32 s10, s10, -1
	s_delay_alu instid0(SALU_CYCLE_1) | instskip(NEXT) | instid1(SALU_CYCLE_1)
	s_and_saveexec_b32 s11, s10
	s_xor_b32 s10, exec_lo, s11
	s_cbranch_execz .LBB28_182
; %bb.179:
	s_xor_b32 s11, s1, -1
	s_delay_alu instid0(SALU_CYCLE_1)
	s_and_saveexec_b32 s1, s11
	s_cbranch_execz .LBB28_181
; %bb.180:
	s_wait_loadcnt 0x1
	v_mov_b32_e32 v7, v6
	s_or_not1_b32 s0, vcc_lo, exec_lo
	s_delay_alu instid0(VALU_DEP_1)
	v_mov_b64_e32 v[2:3], v[6:7]
.LBB28_181:
	s_or_b32 exec_lo, exec_lo, s1
                                        ; implicit-def: $vgpr6
.LBB28_182:
	s_or_saveexec_b32 s1, s10
	v_mul_u64_e32 v[10:11], s[4:5], v[8:9]
	v_ashrrev_i32_e32 v1, 31, v15
	s_xor_b32 exec_lo, exec_lo, s1
	s_cbranch_execz .LBB28_184
; %bb.183:
	s_wait_loadcnt 0x1
	v_cmp_lt_f32_e32 vcc_lo, v6, v2
	s_or_b32 s0, s0, exec_lo
	v_cndmask_b32_e32 v2, v2, v6, vcc_lo
	v_cmp_lt_f32_e32 vcc_lo, v3, v6
	v_cndmask_b32_e32 v3, v3, v6, vcc_lo
.LBB28_184:
	s_or_b32 exec_lo, exec_lo, s1
	s_delay_alu instid0(VALU_DEP_2) | instskip(NEXT) | instid1(VALU_DEP_1)
	v_mul_lo_u32 v5, v11, s3
	v_sub_nc_u32_e32 v5, v8, v5
	s_wait_loadcnt 0x1
	s_delay_alu instid0(VALU_DEP_1) | instskip(SKIP_1) | instid1(VALU_DEP_2)
	v_subrev_nc_u32_e32 v6, s3, v5
	v_cmp_le_u32_e32 vcc_lo, s3, v5
	v_cndmask_b32_e32 v5, v5, v6, vcc_lo
	s_delay_alu instid0(VALU_DEP_1) | instskip(SKIP_1) | instid1(VALU_DEP_2)
	v_subrev_nc_u32_e32 v6, s3, v5
	v_cmp_le_u32_e32 vcc_lo, s3, v5
	v_cndmask_b32_e32 v5, v5, v6, vcc_lo
	s_delay_alu instid0(VALU_DEP_1) | instskip(NEXT) | instid1(VALU_DEP_1)
	v_xor_b32_e32 v5, v5, v1
	v_sub_nc_u32_e32 v1, v5, v1
	s_delay_alu instid0(VALU_DEP_1) | instskip(SKIP_1) | instid1(SALU_CYCLE_1)
	v_cmp_gt_i32_e32 vcc_lo, s18, v1
                                        ; implicit-def: $vgpr1
	s_and_b32 s1, s0, vcc_lo
	s_xor_b32 s1, s1, -1
	s_delay_alu instid0(SALU_CYCLE_1) | instskip(NEXT) | instid1(SALU_CYCLE_1)
	s_and_saveexec_b32 s3, s1
	s_xor_b32 s1, exec_lo, s3
	s_cbranch_execz .LBB28_188
; %bb.185:
	v_mov_b32_e32 v1, 1
	s_xor_b32 s3, s0, -1
	s_delay_alu instid0(SALU_CYCLE_1)
	s_and_saveexec_b32 s0, s3
	s_cbranch_execz .LBB28_187
; %bb.186:
	s_wait_loadcnt 0x0
	v_mov_b32_e32 v5, v4
	v_cndmask_b32_e64 v1, 0, 1, vcc_lo
	s_delay_alu instid0(VALU_DEP_2)
	v_mov_b64_e32 v[2:3], v[4:5]
.LBB28_187:
	s_or_b32 exec_lo, exec_lo, s0
                                        ; implicit-def: $vgpr4
.LBB28_188:
	s_and_not1_saveexec_b32 s0, s1
	s_cbranch_execz .LBB28_190
; %bb.189:
	s_wait_loadcnt 0x0
	s_delay_alu instid0(VALU_DEP_1)
	v_cmp_lt_f32_e32 vcc_lo, v3, v4
	v_dual_mov_b32 v1, 1 :: v_dual_cndmask_b32 v3, v3, v4, vcc_lo
	v_cmp_lt_f32_e32 vcc_lo, v4, v2
	v_cndmask_b32_e32 v2, v2, v4, vcc_lo
.LBB28_190:
	s_or_b32 exec_lo, exec_lo, s0
	s_delay_alu instid0(VALU_DEP_3) | instskip(SKIP_3) | instid1(VALU_DEP_3)
	v_and_b32_e32 v6, 0xff, v1
	v_and_b32_e32 v1, 1, v1
	v_mov_b32_dpp v5, v3 quad_perm:[1,0,3,2] row_mask:0xf bank_mask:0xf
	s_wait_loadcnt 0x0
	v_mov_b32_dpp v4, v6 quad_perm:[1,0,3,2] row_mask:0xf bank_mask:0xf
	s_delay_alu instid0(VALU_DEP_3) | instskip(NEXT) | instid1(VALU_DEP_2)
	v_cmp_eq_u32_e64 s0, 1, v1
                                        ; implicit-def: $vgpr1
	v_and_b32_e32 v4, 1, v4
	s_delay_alu instid0(VALU_DEP_1) | instskip(SKIP_2) | instid1(SALU_CYCLE_1)
	v_cmp_eq_u32_e32 vcc_lo, 1, v4
	v_mov_b32_dpp v4, v2 quad_perm:[1,0,3,2] row_mask:0xf bank_mask:0xf
	s_and_b32 s0, vcc_lo, s0
	s_xor_b32 s0, s0, -1
	s_delay_alu instid0(SALU_CYCLE_1) | instskip(NEXT) | instid1(SALU_CYCLE_1)
	s_and_saveexec_b32 s1, s0
	s_xor_b32 s0, exec_lo, s1
	s_cbranch_execz .LBB28_194
; %bb.191:
	v_mov_b32_e32 v1, 1
	s_xor_b32 s3, vcc_lo, -1
	s_delay_alu instid0(SALU_CYCLE_1)
	s_and_saveexec_b32 s1, s3
; %bb.192:
	v_mov_b64_e32 v[4:5], v[2:3]
	v_mov_b32_e32 v1, v6
; %bb.193:
	s_or_b32 exec_lo, exec_lo, s1
                                        ; implicit-def: $vgpr2_vgpr3
.LBB28_194:
	s_and_not1_saveexec_b32 s0, s0
; %bb.195:
	s_delay_alu instid0(VALU_DEP_2) | instskip(SKIP_1) | instid1(VALU_DEP_4)
	v_cmp_lt_f32_e32 vcc_lo, v5, v3
	v_dual_mov_b32 v1, 1 :: v_dual_cndmask_b32 v5, v5, v3, vcc_lo
	v_cmp_lt_f32_e32 vcc_lo, v2, v4
	v_cndmask_b32_e32 v4, v4, v2, vcc_lo
; %bb.196:
	s_or_b32 exec_lo, exec_lo, s0
	s_delay_alu instid0(VALU_DEP_3) | instskip(NEXT) | instid1(VALU_DEP_1)
	v_mov_b32_dpp v2, v1 quad_perm:[2,3,0,1] row_mask:0xf bank_mask:0xf
	v_and_b32_e32 v3, v2, v1
	v_and_b32_e32 v6, 1, v2
	v_mov_b32_dpp v2, v4 quad_perm:[2,3,0,1] row_mask:0xf bank_mask:0xf
	s_delay_alu instid0(VALU_DEP_3) | instskip(SKIP_1) | instid1(VALU_DEP_4)
	v_and_b32_e32 v7, 1, v3
	v_mov_b32_dpp v3, v5 quad_perm:[2,3,0,1] row_mask:0xf bank_mask:0xf
	v_cmp_ne_u32_e32 vcc_lo, 1, v6
                                        ; implicit-def: $vgpr6
	s_delay_alu instid0(VALU_DEP_3) | instskip(SKIP_1) | instid1(SALU_CYCLE_1)
	v_cmp_ne_u32_e64 s0, 1, v7
	s_and_saveexec_b32 s1, s0
	s_xor_b32 s0, exec_lo, s1
	s_cbranch_execz .LBB28_200
; %bb.197:
	v_mov_b32_e32 v6, 1
	s_and_saveexec_b32 s1, vcc_lo
; %bb.198:
	v_mov_b64_e32 v[2:3], v[4:5]
	v_mov_b32_e32 v6, v1
; %bb.199:
	s_or_b32 exec_lo, exec_lo, s1
                                        ; implicit-def: $vgpr4_vgpr5
.LBB28_200:
	s_and_not1_saveexec_b32 s0, s0
; %bb.201:
	s_delay_alu instid0(VALU_DEP_2) | instskip(SKIP_1) | instid1(VALU_DEP_4)
	v_cmp_lt_f32_e32 vcc_lo, v3, v5
	v_dual_mov_b32 v6, 1 :: v_dual_cndmask_b32 v3, v3, v5
	v_cmp_lt_f32_e32 vcc_lo, v4, v2
	v_cndmask_b32_e32 v2, v2, v4, vcc_lo
; %bb.202:
	s_or_b32 exec_lo, exec_lo, s0
	s_delay_alu instid0(VALU_DEP_3) | instskip(SKIP_1) | instid1(VALU_DEP_2)
	v_mov_b32_dpp v1, v6 row_ror:4 row_mask:0xf bank_mask:0xf
	v_mov_b32_dpp v5, v3 row_ror:4 row_mask:0xf bank_mask:0xf
	v_and_b32_e32 v4, v1, v6
	v_and_b32_e32 v1, 1, v1
	s_delay_alu instid0(VALU_DEP_2) | instskip(SKIP_1) | instid1(VALU_DEP_3)
	v_and_b32_e32 v7, 1, v4
	v_mov_b32_dpp v4, v2 row_ror:4 row_mask:0xf bank_mask:0xf
	v_cmp_ne_u32_e32 vcc_lo, 1, v1
                                        ; implicit-def: $vgpr1
	s_delay_alu instid0(VALU_DEP_3) | instskip(SKIP_1) | instid1(SALU_CYCLE_1)
	v_cmp_ne_u32_e64 s0, 1, v7
	s_and_saveexec_b32 s1, s0
	s_xor_b32 s0, exec_lo, s1
	s_cbranch_execz .LBB28_206
; %bb.203:
	v_mov_b32_e32 v1, 1
	s_and_saveexec_b32 s1, vcc_lo
; %bb.204:
	v_mov_b64_e32 v[4:5], v[2:3]
	v_mov_b32_e32 v1, v6
; %bb.205:
	s_or_b32 exec_lo, exec_lo, s1
                                        ; implicit-def: $vgpr2_vgpr3
.LBB28_206:
	s_and_not1_saveexec_b32 s0, s0
; %bb.207:
	s_delay_alu instid0(VALU_DEP_2) | instskip(SKIP_1) | instid1(VALU_DEP_4)
	v_cmp_lt_f32_e32 vcc_lo, v5, v3
	v_dual_mov_b32 v1, 1 :: v_dual_cndmask_b32 v5, v5, v3, vcc_lo
	v_cmp_lt_f32_e32 vcc_lo, v2, v4
	v_cndmask_b32_e32 v4, v4, v2, vcc_lo
; %bb.208:
	s_or_b32 exec_lo, exec_lo, s0
	s_delay_alu instid0(VALU_DEP_3) | instskip(NEXT) | instid1(VALU_DEP_1)
	v_mov_b32_dpp v2, v1 row_ror:8 row_mask:0xf bank_mask:0xf
	v_and_b32_e32 v3, v2, v1
	v_and_b32_e32 v6, 1, v2
	v_mov_b32_dpp v2, v4 row_ror:8 row_mask:0xf bank_mask:0xf
	s_delay_alu instid0(VALU_DEP_3) | instskip(SKIP_1) | instid1(VALU_DEP_4)
	v_and_b32_e32 v7, 1, v3
	v_mov_b32_dpp v3, v5 row_ror:8 row_mask:0xf bank_mask:0xf
	v_cmp_ne_u32_e32 vcc_lo, 1, v6
                                        ; implicit-def: $vgpr6
	s_delay_alu instid0(VALU_DEP_3) | instskip(SKIP_1) | instid1(SALU_CYCLE_1)
	v_cmp_ne_u32_e64 s0, 1, v7
	s_and_saveexec_b32 s1, s0
	s_xor_b32 s0, exec_lo, s1
	s_cbranch_execz .LBB28_212
; %bb.209:
	v_mov_b32_e32 v6, 1
	s_and_saveexec_b32 s1, vcc_lo
; %bb.210:
	v_mov_b64_e32 v[2:3], v[4:5]
	v_mov_b32_e32 v6, v1
; %bb.211:
	s_or_b32 exec_lo, exec_lo, s1
                                        ; implicit-def: $vgpr4_vgpr5
.LBB28_212:
	s_and_not1_saveexec_b32 s0, s0
; %bb.213:
	s_delay_alu instid0(VALU_DEP_2) | instskip(SKIP_1) | instid1(VALU_DEP_4)
	v_cmp_lt_f32_e32 vcc_lo, v3, v5
	v_dual_mov_b32 v6, 1 :: v_dual_cndmask_b32 v3, v3, v5
	v_cmp_lt_f32_e32 vcc_lo, v4, v2
	v_cndmask_b32_e32 v2, v2, v4, vcc_lo
; %bb.214:
	s_or_b32 exec_lo, exec_lo, s0
	ds_swizzle_b32 v1, v6 offset:swizzle(BROADCAST,32,15)
	ds_swizzle_b32 v4, v2 offset:swizzle(BROADCAST,32,15)
	;; [unrolled: 1-line block ×3, first 2 shown]
	s_wait_dscnt 0x2
	v_and_b32_e32 v7, v1, v6
	v_and_b32_e32 v1, 1, v1
	s_delay_alu instid0(VALU_DEP_2) | instskip(NEXT) | instid1(VALU_DEP_2)
	v_and_b32_e32 v7, 1, v7
	v_cmp_ne_u32_e32 vcc_lo, 1, v1
                                        ; implicit-def: $vgpr1
	s_delay_alu instid0(VALU_DEP_2) | instskip(SKIP_1) | instid1(SALU_CYCLE_1)
	v_cmp_ne_u32_e64 s0, 1, v7
	s_and_saveexec_b32 s1, s0
	s_xor_b32 s0, exec_lo, s1
	s_cbranch_execz .LBB28_218
; %bb.215:
	v_mov_b32_e32 v1, 1
	s_and_saveexec_b32 s1, vcc_lo
	s_cbranch_execz .LBB28_217
; %bb.216:
	s_wait_dscnt 0x0
	v_mov_b64_e32 v[4:5], v[2:3]
	v_mov_b32_e32 v1, v6
.LBB28_217:
	s_or_b32 exec_lo, exec_lo, s1
                                        ; implicit-def: $vgpr2_vgpr3
.LBB28_218:
	s_and_not1_saveexec_b32 s0, s0
	s_cbranch_execz .LBB28_220
; %bb.219:
	s_wait_dscnt 0x0
	s_delay_alu instid0(VALU_DEP_2)
	v_cmp_lt_f32_e32 vcc_lo, v5, v3
	v_dual_mov_b32 v1, 1 :: v_dual_cndmask_b32 v5, v5, v3, vcc_lo
	v_cmp_lt_f32_e32 vcc_lo, v2, v4
	v_cndmask_b32_e32 v4, v4, v2, vcc_lo
.LBB28_220:
	s_or_b32 exec_lo, exec_lo, s0
	v_mov_b32_e32 v3, 0
	v_mbcnt_lo_u32_b32 v6, -1, 0
	s_mov_b32 s0, exec_lo
	ds_bpermute_b32 v1, v3, v1 offset:124
	s_wait_dscnt 0x2
	ds_bpermute_b32 v2, v3, v4 offset:124
	s_wait_dscnt 0x2
	ds_bpermute_b32 v3, v3, v5 offset:124
	v_cmpx_eq_u32_e32 0, v6
	s_cbranch_execz .LBB28_222
; %bb.221:
	v_lshrrev_b32_e32 v4, 5, v0
	s_delay_alu instid0(VALU_DEP_1)
	v_mul_u32_u24_e32 v4, 12, v4
	s_wait_dscnt 0x2
	ds_store_b8 v4, v1 offset:240
	s_wait_dscnt 0x1
	ds_store_2addr_b32 v4, v2, v3 offset0:61 offset1:62
.LBB28_222:
	s_or_b32 exec_lo, exec_lo, s0
	s_delay_alu instid0(SALU_CYCLE_1)
	s_mov_b32 s0, exec_lo
	s_wait_dscnt 0x0
	s_barrier_signal -1
	s_barrier_wait -1
	v_cmpx_gt_u32_e32 32, v0
	s_cbranch_execz .LBB28_236
; %bb.223:
	v_and_b32_e32 v1, 3, v6
	s_mov_b32 s1, exec_lo
	s_delay_alu instid0(VALU_DEP_1)
	v_mul_u32_u24_e32 v2, 12, v1
	v_cmp_ne_u32_e32 vcc_lo, 3, v1
	ds_load_u8 v8, v2 offset:240
	v_add_co_ci_u32_e64 v1, null, 0, v6, vcc_lo
	ds_load_2addr_b32 v[2:3], v2 offset0:61 offset1:62
	v_lshlrev_b32_e32 v5, 2, v1
	s_wait_dscnt 0x1
	v_and_b32_e32 v4, 0xff, v8
	ds_bpermute_b32 v1, v5, v4
	s_wait_dscnt 0x0
	v_and_b32_e32 v7, v8, v1
	ds_bpermute_b32 v4, v5, v2
	ds_bpermute_b32 v5, v5, v3
	v_and_b32_e32 v7, 1, v7
	s_delay_alu instid0(VALU_DEP_1)
	v_cmpx_eq_u32_e32 1, v7
	s_xor_b32 s1, exec_lo, s1
	s_cbranch_execz .LBB28_225
; %bb.224:
	s_wait_dscnt 0x0
	v_cmp_gt_f32_e32 vcc_lo, v5, v3
                                        ; implicit-def: $vgpr1
                                        ; implicit-def: $vgpr8
	v_cndmask_b32_e32 v5, v3, v5, vcc_lo
	v_cmp_gt_f32_e32 vcc_lo, v2, v4
	v_cndmask_b32_e32 v4, v2, v4, vcc_lo
                                        ; implicit-def: $vgpr2_vgpr3
.LBB28_225:
	s_or_saveexec_b32 s1, s1
	v_dual_mov_b32 v7, 1 :: v_dual_lshlrev_b32 v6, 2, v6
	s_xor_b32 exec_lo, exec_lo, s1
	s_cbranch_execz .LBB28_229
; %bb.226:
	v_and_b32_e32 v7, 1, v8
	s_mov_b32 s3, exec_lo
	s_delay_alu instid0(VALU_DEP_1)
	v_cmpx_eq_u32_e32 1, v7
	s_cbranch_execz .LBB28_228
; %bb.227:
	s_wait_dscnt 0x0
	v_mov_b64_e32 v[4:5], v[2:3]
	v_mov_b32_e32 v1, 1
.LBB28_228:
	s_or_b32 exec_lo, exec_lo, s3
	s_delay_alu instid0(VALU_DEP_1)
	v_mov_b32_e32 v7, v1
.LBB28_229:
	s_or_b32 exec_lo, exec_lo, s1
	s_delay_alu instid0(VALU_DEP_1)
	v_and_b32_e32 v1, 0xff, v7
	v_or_b32_e32 v3, 8, v6
	s_mov_b32 s1, exec_lo
	ds_bpermute_b32 v6, v3, v1
	s_wait_dscnt 0x2
	ds_bpermute_b32 v2, v3, v4
	s_wait_dscnt 0x2
	;; [unrolled: 2-line block ×3, first 2 shown]
	v_and_b32_e32 v1, v7, v6
	s_delay_alu instid0(VALU_DEP_1) | instskip(NEXT) | instid1(VALU_DEP_1)
	v_and_b32_e32 v1, 1, v1
	v_cmpx_eq_u32_e32 1, v1
	s_xor_b32 s1, exec_lo, s1
	s_cbranch_execz .LBB28_231
; %bb.230:
	s_wait_dscnt 0x0
	v_cmp_gt_f32_e32 vcc_lo, v3, v5
                                        ; implicit-def: $vgpr6
                                        ; implicit-def: $vgpr7
	v_cndmask_b32_e32 v3, v5, v3, vcc_lo
	v_cmp_gt_f32_e32 vcc_lo, v4, v2
	v_cndmask_b32_e32 v2, v4, v2, vcc_lo
                                        ; implicit-def: $vgpr4_vgpr5
.LBB28_231:
	s_or_saveexec_b32 s1, s1
	v_mov_b32_e32 v1, 1
	s_xor_b32 exec_lo, exec_lo, s1
	s_cbranch_execz .LBB28_235
; %bb.232:
	v_and_b32_e32 v1, 1, v7
	s_mov_b32 s3, exec_lo
	s_delay_alu instid0(VALU_DEP_1)
	v_cmpx_eq_u32_e32 1, v1
	s_cbranch_execz .LBB28_234
; %bb.233:
	s_wait_dscnt 0x0
	v_mov_b64_e32 v[2:3], v[4:5]
	v_mov_b32_e32 v6, 1
.LBB28_234:
	s_or_b32 exec_lo, exec_lo, s3
	s_delay_alu instid0(VALU_DEP_1)
	v_mov_b32_e32 v1, v6
.LBB28_235:
	s_or_b32 exec_lo, exec_lo, s1
.LBB28_236:
	s_delay_alu instid0(SALU_CYCLE_1)
	s_or_b32 exec_lo, exec_lo, s0
	s_mov_b32 s0, 0
	s_branch .LBB28_287
.LBB28_237:
                                        ; implicit-def: $vgpr4_vgpr5
                                        ; implicit-def: $vgpr6
                                        ; implicit-def: $sgpr26_sgpr27
	s_branch .LBB28_675
.LBB28_238:
	s_mov_b32 s0, -1
                                        ; implicit-def: $vgpr2_vgpr3
                                        ; implicit-def: $vgpr1
.LBB28_239:
	s_delay_alu instid0(SALU_CYCLE_1)
	s_and_b32 vcc_lo, exec_lo, s0
	s_cbranch_vccz .LBB28_477
; %bb.240:
	v_dual_mov_b32 v1, 0 :: v_dual_mov_b32 v29, 0
	s_wait_dscnt 0x1
	v_mov_b32_e32 v2, 0
	s_sub_co_i32 s34, s20, s2
	s_mov_b32 s0, exec_lo
	v_cmpx_gt_u32_e64 s34, v0
	s_cbranch_execz .LBB28_242
; %bb.241:
	global_load_b32 v2, v0, s[14:15] scale_offset
	s_abs_i32 s1, s19
	s_delay_alu instid0(SALU_CYCLE_1) | instskip(SKIP_1) | instid1(SALU_CYCLE_2)
	s_cvt_f32_u32 s2, s1
	s_sub_co_i32 s3, 0, s1
	v_rcp_iflag_f32_e32 v1, s2
	v_nop
	s_delay_alu instid0(TRANS32_DEP_1) | instskip(SKIP_3) | instid1(VALU_DEP_1)
	v_readfirstlane_b32 s2, v1
	v_add_nc_u32_e32 v1, s33, v0
	s_mul_f32 s2, s2, 0x4f7ffffe
	s_wait_dscnt 0x0
	v_sub_nc_u32_e32 v3, 0, v1
	s_delay_alu instid0(SALU_CYCLE_1) | instskip(NEXT) | instid1(VALU_DEP_1)
	s_cvt_u32_f32 s2, s2
	v_dual_ashrrev_i32 v1, 31, v1 :: v_dual_max_i32 v3, v1, v3
	s_delay_alu instid0(SALU_CYCLE_2) | instskip(NEXT) | instid1(SALU_CYCLE_1)
	s_mul_i32 s3, s3, s2
	s_mul_hi_u32 s3, s2, s3
	s_delay_alu instid0(SALU_CYCLE_1)
	s_add_co_i32 s2, s2, s3
	s_delay_alu instid0(VALU_DEP_1) | instid1(SALU_CYCLE_1)
	v_mul_hi_u32 v4, v3, s2
	s_delay_alu instid0(VALU_DEP_1) | instskip(NEXT) | instid1(VALU_DEP_1)
	v_mul_lo_u32 v4, v4, s1
	v_sub_nc_u32_e32 v3, v3, v4
	s_delay_alu instid0(VALU_DEP_1) | instskip(SKIP_1) | instid1(VALU_DEP_2)
	v_subrev_nc_u32_e32 v4, s1, v3
	v_cmp_le_u32_e32 vcc_lo, s1, v3
	v_cndmask_b32_e32 v3, v3, v4, vcc_lo
	s_delay_alu instid0(VALU_DEP_1) | instskip(SKIP_1) | instid1(VALU_DEP_2)
	v_subrev_nc_u32_e32 v4, s1, v3
	v_cmp_le_u32_e32 vcc_lo, s1, v3
	v_cndmask_b32_e32 v3, v3, v4, vcc_lo
	s_delay_alu instid0(VALU_DEP_1) | instskip(NEXT) | instid1(VALU_DEP_1)
	v_xor_b32_e32 v3, v3, v1
	v_sub_nc_u32_e32 v1, v3, v1
	s_delay_alu instid0(VALU_DEP_1)
	v_cmp_gt_i32_e32 vcc_lo, s18, v1
	v_cndmask_b32_e64 v1, 0, 1, vcc_lo
.LBB28_242:
	s_wait_xcnt 0x0
	s_or_b32 exec_lo, exec_lo, s0
	s_wait_dscnt 0x0
	v_or_b32_e32 v3, 0x80, v0
	v_mov_b32_e32 v33, 0
	s_delay_alu instid0(VALU_DEP_2)
	v_cmp_gt_u32_e64 s13, s34, v3
	s_and_saveexec_b32 s0, s13
	s_cbranch_execz .LBB28_244
; %bb.243:
	global_load_b32 v29, v0, s[14:15] offset:512 scale_offset
	s_abs_i32 s1, s19
	v_add_nc_u32_e32 v3, s33, v3
	s_cvt_f32_u32 s2, s1
	s_sub_co_i32 s3, 0, s1
	s_delay_alu instid0(SALU_CYCLE_2) | instskip(SKIP_1) | instid1(TRANS32_DEP_1)
	v_rcp_iflag_f32_e32 v4, s2
	v_nop
	v_readfirstlane_b32 s2, v4
	v_sub_nc_u32_e32 v4, 0, v3
	s_mul_f32 s2, s2, 0x4f7ffffe
	s_delay_alu instid0(VALU_DEP_1) | instskip(NEXT) | instid1(SALU_CYCLE_2)
	v_max_i32_e32 v4, v3, v4
	s_cvt_u32_f32 s2, s2
	s_delay_alu instid0(SALU_CYCLE_3) | instskip(NEXT) | instid1(SALU_CYCLE_1)
	s_mul_i32 s3, s3, s2
	s_mul_hi_u32 s3, s2, s3
	s_delay_alu instid0(SALU_CYCLE_1) | instskip(NEXT) | instid1(SALU_CYCLE_1)
	s_add_co_i32 s2, s2, s3
	v_mul_hi_u32 v5, v4, s2
	s_delay_alu instid0(VALU_DEP_1) | instskip(NEXT) | instid1(VALU_DEP_1)
	v_mul_lo_u32 v5, v5, s1
	v_dual_sub_nc_u32 v4, v4, v5 :: v_dual_ashrrev_i32 v3, 31, v3
	s_delay_alu instid0(VALU_DEP_1) | instskip(SKIP_1) | instid1(VALU_DEP_2)
	v_subrev_nc_u32_e32 v5, s1, v4
	v_cmp_le_u32_e32 vcc_lo, s1, v4
	v_cndmask_b32_e32 v4, v4, v5, vcc_lo
	s_delay_alu instid0(VALU_DEP_1) | instskip(SKIP_1) | instid1(VALU_DEP_2)
	v_subrev_nc_u32_e32 v5, s1, v4
	v_cmp_le_u32_e32 vcc_lo, s1, v4
	v_cndmask_b32_e32 v4, v4, v5, vcc_lo
	s_delay_alu instid0(VALU_DEP_1) | instskip(NEXT) | instid1(VALU_DEP_1)
	v_xor_b32_e32 v4, v4, v3
	v_sub_nc_u32_e32 v3, v4, v3
	s_delay_alu instid0(VALU_DEP_1)
	v_cmp_gt_i32_e32 vcc_lo, s18, v3
	v_cndmask_b32_e64 v33, 0, 1, vcc_lo
.LBB28_244:
	s_wait_xcnt 0x0
	s_or_b32 exec_lo, exec_lo, s0
	v_or_b32_e32 v3, 0x100, v0
	v_dual_mov_b32 v32, 0 :: v_dual_mov_b32 v25, 0
	v_mov_b32_e32 v30, 0
	s_delay_alu instid0(VALU_DEP_3)
	v_cmp_gt_u32_e64 s12, s34, v3
	s_and_saveexec_b32 s0, s12
	s_cbranch_execz .LBB28_246
; %bb.245:
	global_load_b32 v30, v0, s[14:15] offset:1024 scale_offset
	s_abs_i32 s1, s19
	v_add_nc_u32_e32 v3, s33, v3
	s_cvt_f32_u32 s2, s1
	s_sub_co_i32 s3, 0, s1
	s_delay_alu instid0(SALU_CYCLE_2) | instskip(SKIP_1) | instid1(TRANS32_DEP_1)
	v_rcp_iflag_f32_e32 v4, s2
	v_nop
	v_readfirstlane_b32 s2, v4
	v_sub_nc_u32_e32 v4, 0, v3
	s_mul_f32 s2, s2, 0x4f7ffffe
	s_delay_alu instid0(VALU_DEP_1) | instskip(NEXT) | instid1(SALU_CYCLE_2)
	v_max_i32_e32 v4, v3, v4
	s_cvt_u32_f32 s2, s2
	s_delay_alu instid0(SALU_CYCLE_3) | instskip(NEXT) | instid1(SALU_CYCLE_1)
	s_mul_i32 s3, s3, s2
	s_mul_hi_u32 s3, s2, s3
	s_delay_alu instid0(SALU_CYCLE_1) | instskip(NEXT) | instid1(SALU_CYCLE_1)
	s_add_co_i32 s2, s2, s3
	v_mul_hi_u32 v5, v4, s2
	s_delay_alu instid0(VALU_DEP_1) | instskip(NEXT) | instid1(VALU_DEP_1)
	v_mul_lo_u32 v5, v5, s1
	v_dual_sub_nc_u32 v4, v4, v5 :: v_dual_ashrrev_i32 v3, 31, v3
	s_delay_alu instid0(VALU_DEP_1) | instskip(SKIP_1) | instid1(VALU_DEP_2)
	v_subrev_nc_u32_e32 v5, s1, v4
	v_cmp_le_u32_e32 vcc_lo, s1, v4
	v_cndmask_b32_e32 v4, v4, v5, vcc_lo
	s_delay_alu instid0(VALU_DEP_1) | instskip(SKIP_1) | instid1(VALU_DEP_2)
	v_subrev_nc_u32_e32 v5, s1, v4
	v_cmp_le_u32_e32 vcc_lo, s1, v4
	v_cndmask_b32_e32 v4, v4, v5, vcc_lo
	s_delay_alu instid0(VALU_DEP_1) | instskip(NEXT) | instid1(VALU_DEP_1)
	v_xor_b32_e32 v4, v4, v3
	v_sub_nc_u32_e32 v3, v4, v3
	s_delay_alu instid0(VALU_DEP_1)
	v_cmp_gt_i32_e32 vcc_lo, s18, v3
	v_cndmask_b32_e64 v32, 0, 1, vcc_lo
.LBB28_246:
	s_wait_xcnt 0x0
	s_or_b32 exec_lo, exec_lo, s0
	v_or_b32_e32 v3, 0x180, v0
	v_mov_b32_e32 v31, 0
	s_delay_alu instid0(VALU_DEP_2)
	v_cmp_gt_u32_e64 s11, s34, v3
	s_and_saveexec_b32 s0, s11
	s_cbranch_execz .LBB28_248
; %bb.247:
	global_load_b32 v25, v0, s[14:15] offset:1536 scale_offset
	s_abs_i32 s1, s19
	v_add_nc_u32_e32 v3, s33, v3
	s_cvt_f32_u32 s2, s1
	s_sub_co_i32 s3, 0, s1
	s_delay_alu instid0(SALU_CYCLE_2) | instskip(SKIP_1) | instid1(TRANS32_DEP_1)
	v_rcp_iflag_f32_e32 v4, s2
	v_nop
	v_readfirstlane_b32 s2, v4
	v_sub_nc_u32_e32 v4, 0, v3
	s_mul_f32 s2, s2, 0x4f7ffffe
	s_delay_alu instid0(VALU_DEP_1) | instskip(NEXT) | instid1(SALU_CYCLE_2)
	v_max_i32_e32 v4, v3, v4
	s_cvt_u32_f32 s2, s2
	s_delay_alu instid0(SALU_CYCLE_3) | instskip(NEXT) | instid1(SALU_CYCLE_1)
	s_mul_i32 s3, s3, s2
	s_mul_hi_u32 s3, s2, s3
	s_delay_alu instid0(SALU_CYCLE_1) | instskip(NEXT) | instid1(SALU_CYCLE_1)
	s_add_co_i32 s2, s2, s3
	v_mul_hi_u32 v5, v4, s2
	s_delay_alu instid0(VALU_DEP_1) | instskip(NEXT) | instid1(VALU_DEP_1)
	v_mul_lo_u32 v5, v5, s1
	v_dual_sub_nc_u32 v4, v4, v5 :: v_dual_ashrrev_i32 v3, 31, v3
	s_delay_alu instid0(VALU_DEP_1) | instskip(SKIP_1) | instid1(VALU_DEP_2)
	v_subrev_nc_u32_e32 v5, s1, v4
	v_cmp_le_u32_e32 vcc_lo, s1, v4
	v_cndmask_b32_e32 v4, v4, v5, vcc_lo
	s_delay_alu instid0(VALU_DEP_1) | instskip(SKIP_1) | instid1(VALU_DEP_2)
	v_subrev_nc_u32_e32 v5, s1, v4
	v_cmp_le_u32_e32 vcc_lo, s1, v4
	v_cndmask_b32_e32 v4, v4, v5, vcc_lo
	s_delay_alu instid0(VALU_DEP_1) | instskip(NEXT) | instid1(VALU_DEP_1)
	v_xor_b32_e32 v4, v4, v3
	v_sub_nc_u32_e32 v3, v4, v3
	s_delay_alu instid0(VALU_DEP_1)
	v_cmp_gt_i32_e32 vcc_lo, s18, v3
	v_cndmask_b32_e64 v31, 0, 1, vcc_lo
.LBB28_248:
	s_wait_xcnt 0x0
	s_or_b32 exec_lo, exec_lo, s0
	v_or_b32_e32 v3, 0x200, v0
	v_dual_mov_b32 v28, 0 :: v_dual_mov_b32 v21, 0
	v_mov_b32_e32 v26, 0
	s_delay_alu instid0(VALU_DEP_3)
	v_cmp_gt_u32_e64 s10, s34, v3
	s_and_saveexec_b32 s0, s10
	s_cbranch_execz .LBB28_250
; %bb.249:
	global_load_b32 v26, v0, s[14:15] offset:2048 scale_offset
	s_abs_i32 s1, s19
	v_add_nc_u32_e32 v3, s33, v3
	s_cvt_f32_u32 s2, s1
	s_sub_co_i32 s3, 0, s1
	s_delay_alu instid0(SALU_CYCLE_2) | instskip(SKIP_1) | instid1(TRANS32_DEP_1)
	v_rcp_iflag_f32_e32 v4, s2
	v_nop
	v_readfirstlane_b32 s2, v4
	v_sub_nc_u32_e32 v4, 0, v3
	s_mul_f32 s2, s2, 0x4f7ffffe
	s_delay_alu instid0(VALU_DEP_1) | instskip(NEXT) | instid1(SALU_CYCLE_2)
	v_max_i32_e32 v4, v3, v4
	s_cvt_u32_f32 s2, s2
	s_delay_alu instid0(SALU_CYCLE_3) | instskip(NEXT) | instid1(SALU_CYCLE_1)
	s_mul_i32 s3, s3, s2
	s_mul_hi_u32 s3, s2, s3
	s_delay_alu instid0(SALU_CYCLE_1) | instskip(NEXT) | instid1(SALU_CYCLE_1)
	s_add_co_i32 s2, s2, s3
	v_mul_hi_u32 v5, v4, s2
	s_delay_alu instid0(VALU_DEP_1) | instskip(NEXT) | instid1(VALU_DEP_1)
	v_mul_lo_u32 v5, v5, s1
	v_dual_sub_nc_u32 v4, v4, v5 :: v_dual_ashrrev_i32 v3, 31, v3
	s_delay_alu instid0(VALU_DEP_1) | instskip(SKIP_1) | instid1(VALU_DEP_2)
	v_subrev_nc_u32_e32 v5, s1, v4
	v_cmp_le_u32_e32 vcc_lo, s1, v4
	v_cndmask_b32_e32 v4, v4, v5, vcc_lo
	s_delay_alu instid0(VALU_DEP_1) | instskip(SKIP_1) | instid1(VALU_DEP_2)
	v_subrev_nc_u32_e32 v5, s1, v4
	v_cmp_le_u32_e32 vcc_lo, s1, v4
	v_cndmask_b32_e32 v4, v4, v5, vcc_lo
	s_delay_alu instid0(VALU_DEP_1) | instskip(NEXT) | instid1(VALU_DEP_1)
	v_xor_b32_e32 v4, v4, v3
	v_sub_nc_u32_e32 v3, v4, v3
	s_delay_alu instid0(VALU_DEP_1)
	v_cmp_gt_i32_e32 vcc_lo, s18, v3
	v_cndmask_b32_e64 v28, 0, 1, vcc_lo
.LBB28_250:
	s_wait_xcnt 0x0
	s_or_b32 exec_lo, exec_lo, s0
	v_or_b32_e32 v3, 0x280, v0
	v_mov_b32_e32 v27, 0
	s_delay_alu instid0(VALU_DEP_2)
	v_cmp_gt_u32_e64 s9, s34, v3
	s_and_saveexec_b32 s0, s9
	s_cbranch_execz .LBB28_252
; %bb.251:
	global_load_b32 v21, v0, s[14:15] offset:2560 scale_offset
	s_abs_i32 s1, s19
	v_add_nc_u32_e32 v3, s33, v3
	s_cvt_f32_u32 s2, s1
	s_sub_co_i32 s3, 0, s1
	s_delay_alu instid0(SALU_CYCLE_2) | instskip(SKIP_1) | instid1(TRANS32_DEP_1)
	v_rcp_iflag_f32_e32 v4, s2
	v_nop
	v_readfirstlane_b32 s2, v4
	v_sub_nc_u32_e32 v4, 0, v3
	s_mul_f32 s2, s2, 0x4f7ffffe
	s_delay_alu instid0(VALU_DEP_1) | instskip(NEXT) | instid1(SALU_CYCLE_2)
	v_max_i32_e32 v4, v3, v4
	s_cvt_u32_f32 s2, s2
	s_delay_alu instid0(SALU_CYCLE_3) | instskip(NEXT) | instid1(SALU_CYCLE_1)
	s_mul_i32 s3, s3, s2
	s_mul_hi_u32 s3, s2, s3
	s_delay_alu instid0(SALU_CYCLE_1) | instskip(NEXT) | instid1(SALU_CYCLE_1)
	s_add_co_i32 s2, s2, s3
	v_mul_hi_u32 v5, v4, s2
	s_delay_alu instid0(VALU_DEP_1) | instskip(NEXT) | instid1(VALU_DEP_1)
	v_mul_lo_u32 v5, v5, s1
	v_dual_sub_nc_u32 v4, v4, v5 :: v_dual_ashrrev_i32 v3, 31, v3
	s_delay_alu instid0(VALU_DEP_1) | instskip(SKIP_1) | instid1(VALU_DEP_2)
	v_subrev_nc_u32_e32 v5, s1, v4
	v_cmp_le_u32_e32 vcc_lo, s1, v4
	v_cndmask_b32_e32 v4, v4, v5, vcc_lo
	s_delay_alu instid0(VALU_DEP_1) | instskip(SKIP_1) | instid1(VALU_DEP_2)
	v_subrev_nc_u32_e32 v5, s1, v4
	v_cmp_le_u32_e32 vcc_lo, s1, v4
	v_cndmask_b32_e32 v4, v4, v5, vcc_lo
	s_delay_alu instid0(VALU_DEP_1) | instskip(NEXT) | instid1(VALU_DEP_1)
	v_xor_b32_e32 v4, v4, v3
	v_sub_nc_u32_e32 v3, v4, v3
	s_delay_alu instid0(VALU_DEP_1)
	v_cmp_gt_i32_e32 vcc_lo, s18, v3
	v_cndmask_b32_e64 v27, 0, 1, vcc_lo
.LBB28_252:
	s_wait_xcnt 0x0
	s_or_b32 exec_lo, exec_lo, s0
	v_or_b32_e32 v3, 0x300, v0
	v_dual_mov_b32 v24, 0 :: v_dual_mov_b32 v17, 0
	v_mov_b32_e32 v22, 0
	s_delay_alu instid0(VALU_DEP_3)
	v_cmp_gt_u32_e64 s8, s34, v3
	s_and_saveexec_b32 s0, s8
	s_cbranch_execz .LBB28_254
; %bb.253:
	global_load_b32 v22, v0, s[14:15] offset:3072 scale_offset
	s_abs_i32 s1, s19
	v_add_nc_u32_e32 v3, s33, v3
	s_cvt_f32_u32 s2, s1
	s_sub_co_i32 s3, 0, s1
	s_delay_alu instid0(SALU_CYCLE_2) | instskip(SKIP_1) | instid1(TRANS32_DEP_1)
	v_rcp_iflag_f32_e32 v4, s2
	v_nop
	v_readfirstlane_b32 s2, v4
	v_sub_nc_u32_e32 v4, 0, v3
	s_mul_f32 s2, s2, 0x4f7ffffe
	s_delay_alu instid0(VALU_DEP_1) | instskip(NEXT) | instid1(SALU_CYCLE_2)
	v_max_i32_e32 v4, v3, v4
	s_cvt_u32_f32 s2, s2
	s_delay_alu instid0(SALU_CYCLE_3) | instskip(NEXT) | instid1(SALU_CYCLE_1)
	s_mul_i32 s3, s3, s2
	s_mul_hi_u32 s3, s2, s3
	s_delay_alu instid0(SALU_CYCLE_1) | instskip(NEXT) | instid1(SALU_CYCLE_1)
	s_add_co_i32 s2, s2, s3
	v_mul_hi_u32 v5, v4, s2
	s_delay_alu instid0(VALU_DEP_1) | instskip(NEXT) | instid1(VALU_DEP_1)
	v_mul_lo_u32 v5, v5, s1
	v_dual_sub_nc_u32 v4, v4, v5 :: v_dual_ashrrev_i32 v3, 31, v3
	s_delay_alu instid0(VALU_DEP_1) | instskip(SKIP_1) | instid1(VALU_DEP_2)
	v_subrev_nc_u32_e32 v5, s1, v4
	v_cmp_le_u32_e32 vcc_lo, s1, v4
	v_cndmask_b32_e32 v4, v4, v5, vcc_lo
	s_delay_alu instid0(VALU_DEP_1) | instskip(SKIP_1) | instid1(VALU_DEP_2)
	v_subrev_nc_u32_e32 v5, s1, v4
	v_cmp_le_u32_e32 vcc_lo, s1, v4
	v_cndmask_b32_e32 v4, v4, v5, vcc_lo
	s_delay_alu instid0(VALU_DEP_1) | instskip(NEXT) | instid1(VALU_DEP_1)
	v_xor_b32_e32 v4, v4, v3
	v_sub_nc_u32_e32 v3, v4, v3
	s_delay_alu instid0(VALU_DEP_1)
	v_cmp_gt_i32_e32 vcc_lo, s18, v3
	v_cndmask_b32_e64 v24, 0, 1, vcc_lo
.LBB28_254:
	s_wait_xcnt 0x0
	s_or_b32 exec_lo, exec_lo, s0
	v_or_b32_e32 v3, 0x380, v0
	v_mov_b32_e32 v23, 0
	s_delay_alu instid0(VALU_DEP_2)
	v_cmp_gt_u32_e64 s7, s34, v3
	s_and_saveexec_b32 s0, s7
	s_cbranch_execz .LBB28_256
; %bb.255:
	global_load_b32 v17, v0, s[14:15] offset:3584 scale_offset
	s_abs_i32 s1, s19
	v_add_nc_u32_e32 v3, s33, v3
	s_cvt_f32_u32 s2, s1
	s_sub_co_i32 s3, 0, s1
	s_delay_alu instid0(SALU_CYCLE_2) | instskip(SKIP_1) | instid1(TRANS32_DEP_1)
	v_rcp_iflag_f32_e32 v4, s2
	v_nop
	v_readfirstlane_b32 s2, v4
	v_sub_nc_u32_e32 v4, 0, v3
	s_mul_f32 s2, s2, 0x4f7ffffe
	s_delay_alu instid0(VALU_DEP_1) | instskip(NEXT) | instid1(SALU_CYCLE_2)
	v_max_i32_e32 v4, v3, v4
	s_cvt_u32_f32 s2, s2
	s_delay_alu instid0(SALU_CYCLE_3) | instskip(NEXT) | instid1(SALU_CYCLE_1)
	s_mul_i32 s3, s3, s2
	s_mul_hi_u32 s3, s2, s3
	s_delay_alu instid0(SALU_CYCLE_1) | instskip(NEXT) | instid1(SALU_CYCLE_1)
	s_add_co_i32 s2, s2, s3
	v_mul_hi_u32 v5, v4, s2
	s_delay_alu instid0(VALU_DEP_1) | instskip(NEXT) | instid1(VALU_DEP_1)
	v_mul_lo_u32 v5, v5, s1
	v_dual_sub_nc_u32 v4, v4, v5 :: v_dual_ashrrev_i32 v3, 31, v3
	s_delay_alu instid0(VALU_DEP_1) | instskip(SKIP_1) | instid1(VALU_DEP_2)
	v_subrev_nc_u32_e32 v5, s1, v4
	v_cmp_le_u32_e32 vcc_lo, s1, v4
	v_cndmask_b32_e32 v4, v4, v5, vcc_lo
	s_delay_alu instid0(VALU_DEP_1) | instskip(SKIP_1) | instid1(VALU_DEP_2)
	v_subrev_nc_u32_e32 v5, s1, v4
	v_cmp_le_u32_e32 vcc_lo, s1, v4
	v_cndmask_b32_e32 v4, v4, v5, vcc_lo
	s_delay_alu instid0(VALU_DEP_1) | instskip(NEXT) | instid1(VALU_DEP_1)
	v_xor_b32_e32 v4, v4, v3
	v_sub_nc_u32_e32 v3, v4, v3
	s_delay_alu instid0(VALU_DEP_1)
	v_cmp_gt_i32_e32 vcc_lo, s18, v3
	v_cndmask_b32_e64 v23, 0, 1, vcc_lo
.LBB28_256:
	s_wait_xcnt 0x0
	s_or_b32 exec_lo, exec_lo, s0
	v_or_b32_e32 v3, 0x400, v0
	v_dual_mov_b32 v20, 0 :: v_dual_mov_b32 v13, 0
	v_mov_b32_e32 v18, 0
	s_delay_alu instid0(VALU_DEP_3)
	v_cmp_gt_u32_e64 s6, s34, v3
	s_and_saveexec_b32 s0, s6
	s_cbranch_execz .LBB28_258
; %bb.257:
	global_load_b32 v18, v0, s[14:15] offset:4096 scale_offset
	s_abs_i32 s1, s19
	v_add_nc_u32_e32 v3, s33, v3
	s_cvt_f32_u32 s2, s1
	s_sub_co_i32 s3, 0, s1
	s_delay_alu instid0(SALU_CYCLE_2) | instskip(SKIP_1) | instid1(TRANS32_DEP_1)
	v_rcp_iflag_f32_e32 v4, s2
	v_nop
	v_readfirstlane_b32 s2, v4
	v_sub_nc_u32_e32 v4, 0, v3
	s_mul_f32 s2, s2, 0x4f7ffffe
	s_delay_alu instid0(VALU_DEP_1) | instskip(NEXT) | instid1(SALU_CYCLE_2)
	v_max_i32_e32 v4, v3, v4
	s_cvt_u32_f32 s2, s2
	s_delay_alu instid0(SALU_CYCLE_3) | instskip(NEXT) | instid1(SALU_CYCLE_1)
	s_mul_i32 s3, s3, s2
	s_mul_hi_u32 s3, s2, s3
	s_delay_alu instid0(SALU_CYCLE_1) | instskip(NEXT) | instid1(SALU_CYCLE_1)
	s_add_co_i32 s2, s2, s3
	v_mul_hi_u32 v5, v4, s2
	s_delay_alu instid0(VALU_DEP_1) | instskip(NEXT) | instid1(VALU_DEP_1)
	v_mul_lo_u32 v5, v5, s1
	v_dual_sub_nc_u32 v4, v4, v5 :: v_dual_ashrrev_i32 v3, 31, v3
	s_delay_alu instid0(VALU_DEP_1) | instskip(SKIP_1) | instid1(VALU_DEP_2)
	v_subrev_nc_u32_e32 v5, s1, v4
	v_cmp_le_u32_e32 vcc_lo, s1, v4
	v_cndmask_b32_e32 v4, v4, v5, vcc_lo
	s_delay_alu instid0(VALU_DEP_1) | instskip(SKIP_1) | instid1(VALU_DEP_2)
	v_subrev_nc_u32_e32 v5, s1, v4
	v_cmp_le_u32_e32 vcc_lo, s1, v4
	v_cndmask_b32_e32 v4, v4, v5, vcc_lo
	s_delay_alu instid0(VALU_DEP_1) | instskip(NEXT) | instid1(VALU_DEP_1)
	v_xor_b32_e32 v4, v4, v3
	v_sub_nc_u32_e32 v3, v4, v3
	s_delay_alu instid0(VALU_DEP_1)
	v_cmp_gt_i32_e32 vcc_lo, s18, v3
	v_cndmask_b32_e64 v20, 0, 1, vcc_lo
.LBB28_258:
	s_wait_xcnt 0x0
	s_or_b32 exec_lo, exec_lo, s0
	v_or_b32_e32 v3, 0x480, v0
	v_mov_b32_e32 v19, 0
	s_delay_alu instid0(VALU_DEP_2)
	v_cmp_gt_u32_e64 s5, s34, v3
	s_and_saveexec_b32 s0, s5
	s_cbranch_execz .LBB28_260
; %bb.259:
	global_load_b32 v13, v0, s[14:15] offset:4608 scale_offset
	s_abs_i32 s1, s19
	v_add_nc_u32_e32 v3, s33, v3
	s_cvt_f32_u32 s2, s1
	s_sub_co_i32 s3, 0, s1
	s_delay_alu instid0(SALU_CYCLE_2) | instskip(SKIP_1) | instid1(TRANS32_DEP_1)
	v_rcp_iflag_f32_e32 v4, s2
	v_nop
	v_readfirstlane_b32 s2, v4
	v_sub_nc_u32_e32 v4, 0, v3
	s_mul_f32 s2, s2, 0x4f7ffffe
	s_delay_alu instid0(VALU_DEP_1) | instskip(NEXT) | instid1(SALU_CYCLE_2)
	v_max_i32_e32 v4, v3, v4
	s_cvt_u32_f32 s2, s2
	s_delay_alu instid0(SALU_CYCLE_3) | instskip(NEXT) | instid1(SALU_CYCLE_1)
	s_mul_i32 s3, s3, s2
	s_mul_hi_u32 s3, s2, s3
	s_delay_alu instid0(SALU_CYCLE_1) | instskip(NEXT) | instid1(SALU_CYCLE_1)
	s_add_co_i32 s2, s2, s3
	v_mul_hi_u32 v5, v4, s2
	s_delay_alu instid0(VALU_DEP_1) | instskip(NEXT) | instid1(VALU_DEP_1)
	v_mul_lo_u32 v5, v5, s1
	v_dual_sub_nc_u32 v4, v4, v5 :: v_dual_ashrrev_i32 v3, 31, v3
	s_delay_alu instid0(VALU_DEP_1) | instskip(SKIP_1) | instid1(VALU_DEP_2)
	v_subrev_nc_u32_e32 v5, s1, v4
	v_cmp_le_u32_e32 vcc_lo, s1, v4
	v_cndmask_b32_e32 v4, v4, v5, vcc_lo
	s_delay_alu instid0(VALU_DEP_1) | instskip(SKIP_1) | instid1(VALU_DEP_2)
	v_subrev_nc_u32_e32 v5, s1, v4
	v_cmp_le_u32_e32 vcc_lo, s1, v4
	v_cndmask_b32_e32 v4, v4, v5, vcc_lo
	s_delay_alu instid0(VALU_DEP_1) | instskip(NEXT) | instid1(VALU_DEP_1)
	v_xor_b32_e32 v4, v4, v3
	v_sub_nc_u32_e32 v3, v4, v3
	s_delay_alu instid0(VALU_DEP_1)
	v_cmp_gt_i32_e32 vcc_lo, s18, v3
	v_cndmask_b32_e64 v19, 0, 1, vcc_lo
.LBB28_260:
	s_wait_xcnt 0x0
	s_or_b32 exec_lo, exec_lo, s0
	v_or_b32_e32 v3, 0x500, v0
	v_dual_mov_b32 v16, 0 :: v_dual_mov_b32 v10, 0
	v_mov_b32_e32 v14, 0
	s_delay_alu instid0(VALU_DEP_3)
	v_cmp_gt_u32_e64 s4, s34, v3
	s_and_saveexec_b32 s0, s4
	s_cbranch_execz .LBB28_262
; %bb.261:
	global_load_b32 v14, v0, s[14:15] offset:5120 scale_offset
	s_abs_i32 s1, s19
	v_add_nc_u32_e32 v3, s33, v3
	s_cvt_f32_u32 s2, s1
	s_sub_co_i32 s3, 0, s1
	s_delay_alu instid0(SALU_CYCLE_2) | instskip(SKIP_1) | instid1(TRANS32_DEP_1)
	v_rcp_iflag_f32_e32 v4, s2
	v_nop
	v_readfirstlane_b32 s2, v4
	v_sub_nc_u32_e32 v4, 0, v3
	s_mul_f32 s2, s2, 0x4f7ffffe
	s_delay_alu instid0(VALU_DEP_1) | instskip(NEXT) | instid1(SALU_CYCLE_2)
	v_max_i32_e32 v4, v3, v4
	s_cvt_u32_f32 s2, s2
	s_delay_alu instid0(SALU_CYCLE_3) | instskip(NEXT) | instid1(SALU_CYCLE_1)
	s_mul_i32 s3, s3, s2
	s_mul_hi_u32 s3, s2, s3
	s_delay_alu instid0(SALU_CYCLE_1) | instskip(NEXT) | instid1(SALU_CYCLE_1)
	s_add_co_i32 s2, s2, s3
	v_mul_hi_u32 v5, v4, s2
	s_delay_alu instid0(VALU_DEP_1) | instskip(NEXT) | instid1(VALU_DEP_1)
	v_mul_lo_u32 v5, v5, s1
	v_dual_sub_nc_u32 v4, v4, v5 :: v_dual_ashrrev_i32 v3, 31, v3
	s_delay_alu instid0(VALU_DEP_1) | instskip(SKIP_1) | instid1(VALU_DEP_2)
	v_subrev_nc_u32_e32 v5, s1, v4
	v_cmp_le_u32_e32 vcc_lo, s1, v4
	v_cndmask_b32_e32 v4, v4, v5, vcc_lo
	s_delay_alu instid0(VALU_DEP_1) | instskip(SKIP_1) | instid1(VALU_DEP_2)
	v_subrev_nc_u32_e32 v5, s1, v4
	v_cmp_le_u32_e32 vcc_lo, s1, v4
	v_cndmask_b32_e32 v4, v4, v5, vcc_lo
	s_delay_alu instid0(VALU_DEP_1) | instskip(NEXT) | instid1(VALU_DEP_1)
	v_xor_b32_e32 v4, v4, v3
	v_sub_nc_u32_e32 v3, v4, v3
	s_delay_alu instid0(VALU_DEP_1)
	v_cmp_gt_i32_e32 vcc_lo, s18, v3
	v_cndmask_b32_e64 v16, 0, 1, vcc_lo
.LBB28_262:
	s_wait_xcnt 0x0
	s_or_b32 exec_lo, exec_lo, s0
	v_or_b32_e32 v3, 0x580, v0
	v_mov_b32_e32 v15, 0
	s_delay_alu instid0(VALU_DEP_2)
	v_cmp_gt_u32_e64 s3, s34, v3
	s_and_saveexec_b32 s0, s3
	s_cbranch_execz .LBB28_264
; %bb.263:
	global_load_b32 v10, v0, s[14:15] offset:5632 scale_offset
	s_abs_i32 s1, s19
	v_add_nc_u32_e32 v3, s33, v3
	s_cvt_f32_u32 s2, s1
	s_sub_co_i32 s35, 0, s1
	s_delay_alu instid0(SALU_CYCLE_2) | instskip(SKIP_1) | instid1(TRANS32_DEP_1)
	v_rcp_iflag_f32_e32 v4, s2
	v_nop
	v_readfirstlane_b32 s2, v4
	v_sub_nc_u32_e32 v4, 0, v3
	s_mul_f32 s2, s2, 0x4f7ffffe
	s_delay_alu instid0(VALU_DEP_1) | instskip(NEXT) | instid1(SALU_CYCLE_2)
	v_max_i32_e32 v4, v3, v4
	s_cvt_u32_f32 s2, s2
	s_delay_alu instid0(SALU_CYCLE_3) | instskip(NEXT) | instid1(SALU_CYCLE_1)
	s_mul_i32 s35, s35, s2
	s_mul_hi_u32 s35, s2, s35
	s_delay_alu instid0(SALU_CYCLE_1) | instskip(NEXT) | instid1(SALU_CYCLE_1)
	s_add_co_i32 s2, s2, s35
	v_mul_hi_u32 v5, v4, s2
	s_delay_alu instid0(VALU_DEP_1) | instskip(NEXT) | instid1(VALU_DEP_1)
	v_mul_lo_u32 v5, v5, s1
	v_dual_sub_nc_u32 v4, v4, v5 :: v_dual_ashrrev_i32 v3, 31, v3
	s_delay_alu instid0(VALU_DEP_1) | instskip(SKIP_1) | instid1(VALU_DEP_2)
	v_subrev_nc_u32_e32 v5, s1, v4
	v_cmp_le_u32_e32 vcc_lo, s1, v4
	v_cndmask_b32_e32 v4, v4, v5, vcc_lo
	s_delay_alu instid0(VALU_DEP_1) | instskip(SKIP_1) | instid1(VALU_DEP_2)
	v_subrev_nc_u32_e32 v5, s1, v4
	v_cmp_le_u32_e32 vcc_lo, s1, v4
	v_cndmask_b32_e32 v4, v4, v5, vcc_lo
	s_delay_alu instid0(VALU_DEP_1) | instskip(NEXT) | instid1(VALU_DEP_1)
	v_xor_b32_e32 v4, v4, v3
	v_sub_nc_u32_e32 v3, v4, v3
	s_delay_alu instid0(VALU_DEP_1)
	v_cmp_gt_i32_e32 vcc_lo, s18, v3
	v_cndmask_b32_e64 v15, 0, 1, vcc_lo
.LBB28_264:
	s_wait_xcnt 0x0
	s_or_b32 exec_lo, exec_lo, s0
	v_or_b32_e32 v3, 0x600, v0
	v_dual_mov_b32 v11, 0 :: v_dual_mov_b32 v7, 0
	v_mov_b32_e32 v12, 0
	s_delay_alu instid0(VALU_DEP_3)
	v_cmp_gt_u32_e64 s2, s34, v3
	s_and_saveexec_b32 s0, s2
	s_cbranch_execz .LBB28_266
; %bb.265:
	global_load_b32 v11, v0, s[14:15] offset:6144 scale_offset
	s_abs_i32 s1, s19
	v_add_nc_u32_e32 v3, s33, v3
	s_cvt_f32_u32 s35, s1
	s_sub_co_i32 s36, 0, s1
	s_delay_alu instid0(SALU_CYCLE_2) | instskip(SKIP_1) | instid1(TRANS32_DEP_1)
	v_rcp_iflag_f32_e32 v4, s35
	v_nop
	v_readfirstlane_b32 s35, v4
	v_sub_nc_u32_e32 v4, 0, v3
	s_mul_f32 s35, s35, 0x4f7ffffe
	s_delay_alu instid0(VALU_DEP_1) | instskip(NEXT) | instid1(SALU_CYCLE_2)
	v_max_i32_e32 v4, v3, v4
	s_cvt_u32_f32 s35, s35
	s_delay_alu instid0(SALU_CYCLE_3) | instskip(NEXT) | instid1(SALU_CYCLE_1)
	s_mul_i32 s36, s36, s35
	s_mul_hi_u32 s36, s35, s36
	s_delay_alu instid0(SALU_CYCLE_1) | instskip(NEXT) | instid1(SALU_CYCLE_1)
	s_add_co_i32 s35, s35, s36
	v_mul_hi_u32 v5, v4, s35
	s_delay_alu instid0(VALU_DEP_1) | instskip(NEXT) | instid1(VALU_DEP_1)
	v_mul_lo_u32 v5, v5, s1
	v_dual_sub_nc_u32 v4, v4, v5 :: v_dual_ashrrev_i32 v3, 31, v3
	s_delay_alu instid0(VALU_DEP_1) | instskip(SKIP_1) | instid1(VALU_DEP_2)
	v_subrev_nc_u32_e32 v5, s1, v4
	v_cmp_le_u32_e32 vcc_lo, s1, v4
	v_cndmask_b32_e32 v4, v4, v5, vcc_lo
	s_delay_alu instid0(VALU_DEP_1) | instskip(SKIP_1) | instid1(VALU_DEP_2)
	v_subrev_nc_u32_e32 v5, s1, v4
	v_cmp_le_u32_e32 vcc_lo, s1, v4
	v_cndmask_b32_e32 v4, v4, v5, vcc_lo
	s_delay_alu instid0(VALU_DEP_1) | instskip(NEXT) | instid1(VALU_DEP_1)
	v_xor_b32_e32 v4, v4, v3
	v_sub_nc_u32_e32 v3, v4, v3
	s_delay_alu instid0(VALU_DEP_1)
	v_cmp_gt_i32_e32 vcc_lo, s18, v3
	v_cndmask_b32_e64 v12, 0, 1, vcc_lo
.LBB28_266:
	s_wait_xcnt 0x0
	s_or_b32 exec_lo, exec_lo, s0
	v_or_b32_e32 v3, 0x680, v0
	v_mov_b32_e32 v5, 0
	s_delay_alu instid0(VALU_DEP_2)
	v_cmp_gt_u32_e64 s1, s34, v3
	s_and_saveexec_b32 s0, s1
	s_cbranch_execz .LBB28_268
; %bb.267:
	global_load_b32 v5, v0, s[14:15] offset:6656 scale_offset
	s_abs_i32 s35, s19
	v_add_nc_u32_e32 v3, s33, v3
	s_cvt_f32_u32 s36, s35
	s_sub_co_i32 s37, 0, s35
	s_delay_alu instid0(SALU_CYCLE_2) | instskip(SKIP_1) | instid1(TRANS32_DEP_1)
	v_rcp_iflag_f32_e32 v4, s36
	v_nop
	v_readfirstlane_b32 s36, v4
	v_sub_nc_u32_e32 v4, 0, v3
	s_mul_f32 s36, s36, 0x4f7ffffe
	s_delay_alu instid0(VALU_DEP_1) | instskip(NEXT) | instid1(SALU_CYCLE_2)
	v_max_i32_e32 v4, v3, v4
	s_cvt_u32_f32 s36, s36
	s_delay_alu instid0(SALU_CYCLE_3) | instskip(NEXT) | instid1(SALU_CYCLE_1)
	s_mul_i32 s37, s37, s36
	s_mul_hi_u32 s37, s36, s37
	s_delay_alu instid0(SALU_CYCLE_1) | instskip(NEXT) | instid1(SALU_CYCLE_1)
	s_add_co_i32 s36, s36, s37
	v_mul_hi_u32 v6, v4, s36
	s_delay_alu instid0(VALU_DEP_1) | instskip(NEXT) | instid1(VALU_DEP_1)
	v_mul_lo_u32 v6, v6, s35
	v_dual_sub_nc_u32 v4, v4, v6 :: v_dual_ashrrev_i32 v3, 31, v3
	s_delay_alu instid0(VALU_DEP_1) | instskip(SKIP_1) | instid1(VALU_DEP_2)
	v_subrev_nc_u32_e32 v6, s35, v4
	v_cmp_le_u32_e32 vcc_lo, s35, v4
	v_cndmask_b32_e32 v4, v4, v6, vcc_lo
	s_delay_alu instid0(VALU_DEP_1) | instskip(SKIP_1) | instid1(VALU_DEP_2)
	v_subrev_nc_u32_e32 v6, s35, v4
	v_cmp_le_u32_e32 vcc_lo, s35, v4
	v_cndmask_b32_e32 v4, v4, v6, vcc_lo
	s_delay_alu instid0(VALU_DEP_1) | instskip(NEXT) | instid1(VALU_DEP_1)
	v_xor_b32_e32 v4, v4, v3
	v_sub_nc_u32_e32 v3, v4, v3
	s_delay_alu instid0(VALU_DEP_1)
	v_cmp_gt_i32_e32 vcc_lo, s18, v3
	v_cndmask_b32_e64 v7, 0, 1, vcc_lo
.LBB28_268:
	s_wait_xcnt 0x0
	s_or_b32 exec_lo, exec_lo, s0
	v_or_b32_e32 v3, 0x700, v0
	v_dual_mov_b32 v6, 0 :: v_dual_mov_b32 v8, 0
	v_mov_b32_e32 v9, 0
	s_delay_alu instid0(VALU_DEP_3)
	v_cmp_gt_u32_e64 s0, s34, v3
	s_and_saveexec_b32 s35, s0
	s_cbranch_execz .LBB28_270
; %bb.269:
	global_load_b32 v6, v0, s[14:15] offset:7168 scale_offset
	s_abs_i32 s36, s19
	v_add_nc_u32_e32 v3, s33, v3
	s_cvt_f32_u32 s37, s36
	s_sub_co_i32 s38, 0, s36
	s_delay_alu instid0(SALU_CYCLE_2) | instskip(SKIP_1) | instid1(TRANS32_DEP_1)
	v_rcp_iflag_f32_e32 v4, s37
	v_nop
	v_readfirstlane_b32 s37, v4
	v_sub_nc_u32_e32 v4, 0, v3
	s_mul_f32 s37, s37, 0x4f7ffffe
	s_delay_alu instid0(VALU_DEP_1) | instskip(NEXT) | instid1(SALU_CYCLE_2)
	v_max_i32_e32 v4, v3, v4
	s_cvt_u32_f32 s37, s37
	s_delay_alu instid0(SALU_CYCLE_3) | instskip(NEXT) | instid1(SALU_CYCLE_1)
	s_mul_i32 s38, s38, s37
	s_mul_hi_u32 s38, s37, s38
	s_delay_alu instid0(SALU_CYCLE_1) | instskip(NEXT) | instid1(SALU_CYCLE_1)
	s_add_co_i32 s37, s37, s38
	v_mul_hi_u32 v9, v4, s37
	s_delay_alu instid0(VALU_DEP_1) | instskip(NEXT) | instid1(VALU_DEP_1)
	v_mul_lo_u32 v9, v9, s36
	v_dual_sub_nc_u32 v4, v4, v9 :: v_dual_ashrrev_i32 v3, 31, v3
	s_delay_alu instid0(VALU_DEP_1) | instskip(SKIP_1) | instid1(VALU_DEP_2)
	v_subrev_nc_u32_e32 v9, s36, v4
	v_cmp_le_u32_e32 vcc_lo, s36, v4
	v_cndmask_b32_e32 v4, v4, v9, vcc_lo
	s_delay_alu instid0(VALU_DEP_1) | instskip(SKIP_1) | instid1(VALU_DEP_2)
	v_subrev_nc_u32_e32 v9, s36, v4
	v_cmp_le_u32_e32 vcc_lo, s36, v4
	v_cndmask_b32_e32 v4, v4, v9, vcc_lo
	s_delay_alu instid0(VALU_DEP_1) | instskip(NEXT) | instid1(VALU_DEP_1)
	v_xor_b32_e32 v4, v4, v3
	v_sub_nc_u32_e32 v3, v4, v3
	s_delay_alu instid0(VALU_DEP_1)
	v_cmp_gt_i32_e32 vcc_lo, s18, v3
	v_cndmask_b32_e64 v9, 0, 1, vcc_lo
.LBB28_270:
	s_wait_xcnt 0x0
	s_or_b32 exec_lo, exec_lo, s35
	v_or_b32_e32 v3, 0x780, v0
	v_mov_b32_e32 v4, 0
	s_delay_alu instid0(VALU_DEP_2)
	v_cmp_gt_u32_e32 vcc_lo, s34, v3
	s_and_saveexec_b32 s35, vcc_lo
	s_cbranch_execnz .LBB28_310
; %bb.271:
	s_or_b32 exec_lo, exec_lo, s35
	s_wait_loadcnt 0x0
	v_mov_b32_e32 v3, v2
	s_and_saveexec_b32 s15, s13
	s_cbranch_execnz .LBB28_311
.LBB28_272:
	s_or_b32 exec_lo, exec_lo, s15
	s_and_saveexec_b32 s14, s12
	s_cbranch_execnz .LBB28_318
.LBB28_273:
	s_or_b32 exec_lo, exec_lo, s14
	s_and_saveexec_b32 s13, s11
	s_cbranch_execnz .LBB28_325
.LBB28_274:
	s_or_b32 exec_lo, exec_lo, s13
	s_and_saveexec_b32 s12, s10
	s_cbranch_execnz .LBB28_332
.LBB28_275:
	s_or_b32 exec_lo, exec_lo, s12
	s_and_saveexec_b32 s11, s9
	s_cbranch_execnz .LBB28_339
.LBB28_276:
	s_or_b32 exec_lo, exec_lo, s11
	s_and_saveexec_b32 s10, s8
	s_cbranch_execnz .LBB28_346
.LBB28_277:
	s_or_b32 exec_lo, exec_lo, s10
	s_and_saveexec_b32 s9, s7
	s_cbranch_execnz .LBB28_353
.LBB28_278:
	s_or_b32 exec_lo, exec_lo, s9
	s_and_saveexec_b32 s8, s6
	s_cbranch_execnz .LBB28_360
.LBB28_279:
	s_or_b32 exec_lo, exec_lo, s8
	s_and_saveexec_b32 s7, s5
	s_cbranch_execnz .LBB28_367
.LBB28_280:
	s_or_b32 exec_lo, exec_lo, s7
	s_and_saveexec_b32 s6, s4
	s_cbranch_execnz .LBB28_374
.LBB28_281:
	s_or_b32 exec_lo, exec_lo, s6
	s_and_saveexec_b32 s5, s3
	s_cbranch_execnz .LBB28_381
.LBB28_282:
	s_or_b32 exec_lo, exec_lo, s5
	s_and_saveexec_b32 s4, s2
	s_cbranch_execnz .LBB28_388
.LBB28_283:
	s_or_b32 exec_lo, exec_lo, s4
	s_and_saveexec_b32 s3, s1
	s_cbranch_execnz .LBB28_395
.LBB28_284:
	s_or_b32 exec_lo, exec_lo, s3
	s_and_saveexec_b32 s2, s0
	s_cbranch_execnz .LBB28_402
.LBB28_285:
	s_or_b32 exec_lo, exec_lo, s2
	s_and_saveexec_b32 s1, vcc_lo
	s_cbranch_execnz .LBB28_409
	s_branch .LBB28_416
.LBB28_286:
	s_mov_b32 s0, -1
                                        ; implicit-def: $vgpr2_vgpr3
                                        ; implicit-def: $vgpr1
.LBB28_287:
	s_delay_alu instid0(SALU_CYCLE_1)
	s_and_b32 vcc_lo, exec_lo, s0
	s_cbranch_vccz .LBB28_598
; %bb.288:
	v_dual_mov_b32 v1, 0 :: v_dual_mov_b32 v13, 0
	s_wait_dscnt 0x1
	v_mov_b32_e32 v2, 0
	s_sub_co_i32 s10, s20, s2
	s_mov_b32 s0, exec_lo
	v_cmpx_gt_u32_e64 s10, v0
	s_cbranch_execz .LBB28_290
; %bb.289:
	global_load_b32 v2, v0, s[6:7] scale_offset
	s_abs_i32 s1, s19
	s_delay_alu instid0(SALU_CYCLE_1) | instskip(SKIP_1) | instid1(SALU_CYCLE_2)
	s_cvt_f32_u32 s2, s1
	s_sub_co_i32 s3, 0, s1
	v_rcp_iflag_f32_e32 v1, s2
	v_nop
	s_delay_alu instid0(TRANS32_DEP_1) | instskip(SKIP_3) | instid1(VALU_DEP_1)
	v_readfirstlane_b32 s2, v1
	v_add_nc_u32_e32 v1, s9, v0
	s_mul_f32 s2, s2, 0x4f7ffffe
	s_wait_dscnt 0x0
	v_sub_nc_u32_e32 v3, 0, v1
	s_delay_alu instid0(SALU_CYCLE_1) | instskip(NEXT) | instid1(VALU_DEP_1)
	s_cvt_u32_f32 s2, s2
	v_dual_ashrrev_i32 v1, 31, v1 :: v_dual_max_i32 v3, v1, v3
	s_delay_alu instid0(SALU_CYCLE_2) | instskip(NEXT) | instid1(SALU_CYCLE_1)
	s_mul_i32 s3, s3, s2
	s_mul_hi_u32 s3, s2, s3
	s_delay_alu instid0(SALU_CYCLE_1)
	s_add_co_i32 s2, s2, s3
	s_delay_alu instid0(VALU_DEP_1) | instid1(SALU_CYCLE_1)
	v_mul_hi_u32 v4, v3, s2
	s_delay_alu instid0(VALU_DEP_1) | instskip(NEXT) | instid1(VALU_DEP_1)
	v_mul_lo_u32 v4, v4, s1
	v_sub_nc_u32_e32 v3, v3, v4
	s_delay_alu instid0(VALU_DEP_1) | instskip(SKIP_1) | instid1(VALU_DEP_2)
	v_subrev_nc_u32_e32 v4, s1, v3
	v_cmp_le_u32_e32 vcc_lo, s1, v3
	v_cndmask_b32_e32 v3, v3, v4, vcc_lo
	s_delay_alu instid0(VALU_DEP_1) | instskip(SKIP_1) | instid1(VALU_DEP_2)
	v_subrev_nc_u32_e32 v4, s1, v3
	v_cmp_le_u32_e32 vcc_lo, s1, v3
	v_cndmask_b32_e32 v3, v3, v4, vcc_lo
	s_delay_alu instid0(VALU_DEP_1) | instskip(NEXT) | instid1(VALU_DEP_1)
	v_xor_b32_e32 v3, v3, v1
	v_sub_nc_u32_e32 v1, v3, v1
	s_delay_alu instid0(VALU_DEP_1)
	v_cmp_gt_i32_e32 vcc_lo, s18, v1
	v_cndmask_b32_e64 v1, 0, 1, vcc_lo
.LBB28_290:
	s_wait_xcnt 0x0
	s_or_b32 exec_lo, exec_lo, s0
	s_wait_dscnt 0x0
	v_or_b32_e32 v3, 0x80, v0
	v_mov_b32_e32 v17, 0
	s_delay_alu instid0(VALU_DEP_2)
	v_cmp_gt_u32_e64 s5, s10, v3
	s_and_saveexec_b32 s0, s5
	s_cbranch_execz .LBB28_292
; %bb.291:
	global_load_b32 v13, v0, s[6:7] offset:512 scale_offset
	s_abs_i32 s1, s19
	v_add_nc_u32_e32 v3, s9, v3
	s_cvt_f32_u32 s2, s1
	s_sub_co_i32 s3, 0, s1
	s_delay_alu instid0(SALU_CYCLE_2) | instskip(SKIP_1) | instid1(TRANS32_DEP_1)
	v_rcp_iflag_f32_e32 v4, s2
	v_nop
	v_readfirstlane_b32 s2, v4
	v_sub_nc_u32_e32 v4, 0, v3
	s_mul_f32 s2, s2, 0x4f7ffffe
	s_delay_alu instid0(VALU_DEP_1) | instskip(NEXT) | instid1(SALU_CYCLE_2)
	v_max_i32_e32 v4, v3, v4
	s_cvt_u32_f32 s2, s2
	s_delay_alu instid0(SALU_CYCLE_3) | instskip(NEXT) | instid1(SALU_CYCLE_1)
	s_mul_i32 s3, s3, s2
	s_mul_hi_u32 s3, s2, s3
	s_delay_alu instid0(SALU_CYCLE_1) | instskip(NEXT) | instid1(SALU_CYCLE_1)
	s_add_co_i32 s2, s2, s3
	v_mul_hi_u32 v5, v4, s2
	s_delay_alu instid0(VALU_DEP_1) | instskip(NEXT) | instid1(VALU_DEP_1)
	v_mul_lo_u32 v5, v5, s1
	v_dual_sub_nc_u32 v4, v4, v5 :: v_dual_ashrrev_i32 v3, 31, v3
	s_delay_alu instid0(VALU_DEP_1) | instskip(SKIP_1) | instid1(VALU_DEP_2)
	v_subrev_nc_u32_e32 v5, s1, v4
	v_cmp_le_u32_e32 vcc_lo, s1, v4
	v_cndmask_b32_e32 v4, v4, v5, vcc_lo
	s_delay_alu instid0(VALU_DEP_1) | instskip(SKIP_1) | instid1(VALU_DEP_2)
	v_subrev_nc_u32_e32 v5, s1, v4
	v_cmp_le_u32_e32 vcc_lo, s1, v4
	v_cndmask_b32_e32 v4, v4, v5, vcc_lo
	s_delay_alu instid0(VALU_DEP_1) | instskip(NEXT) | instid1(VALU_DEP_1)
	v_xor_b32_e32 v4, v4, v3
	v_sub_nc_u32_e32 v3, v4, v3
	s_delay_alu instid0(VALU_DEP_1)
	v_cmp_gt_i32_e32 vcc_lo, s18, v3
	v_cndmask_b32_e64 v17, 0, 1, vcc_lo
.LBB28_292:
	s_wait_xcnt 0x0
	s_or_b32 exec_lo, exec_lo, s0
	v_or_b32_e32 v3, 0x100, v0
	v_dual_mov_b32 v16, 0 :: v_dual_mov_b32 v7, 0
	v_mov_b32_e32 v14, 0
	s_delay_alu instid0(VALU_DEP_3)
	v_cmp_gt_u32_e64 s4, s10, v3
	s_and_saveexec_b32 s0, s4
	s_cbranch_execz .LBB28_294
; %bb.293:
	global_load_b32 v14, v0, s[6:7] offset:1024 scale_offset
	s_abs_i32 s1, s19
	v_add_nc_u32_e32 v3, s9, v3
	s_cvt_f32_u32 s2, s1
	s_sub_co_i32 s3, 0, s1
	s_delay_alu instid0(SALU_CYCLE_2) | instskip(SKIP_1) | instid1(TRANS32_DEP_1)
	v_rcp_iflag_f32_e32 v4, s2
	v_nop
	v_readfirstlane_b32 s2, v4
	v_sub_nc_u32_e32 v4, 0, v3
	s_mul_f32 s2, s2, 0x4f7ffffe
	s_delay_alu instid0(VALU_DEP_1) | instskip(NEXT) | instid1(SALU_CYCLE_2)
	v_max_i32_e32 v4, v3, v4
	s_cvt_u32_f32 s2, s2
	s_delay_alu instid0(SALU_CYCLE_3) | instskip(NEXT) | instid1(SALU_CYCLE_1)
	s_mul_i32 s3, s3, s2
	s_mul_hi_u32 s3, s2, s3
	s_delay_alu instid0(SALU_CYCLE_1) | instskip(NEXT) | instid1(SALU_CYCLE_1)
	s_add_co_i32 s2, s2, s3
	v_mul_hi_u32 v5, v4, s2
	s_delay_alu instid0(VALU_DEP_1) | instskip(NEXT) | instid1(VALU_DEP_1)
	v_mul_lo_u32 v5, v5, s1
	v_dual_sub_nc_u32 v4, v4, v5 :: v_dual_ashrrev_i32 v3, 31, v3
	s_delay_alu instid0(VALU_DEP_1) | instskip(SKIP_1) | instid1(VALU_DEP_2)
	v_subrev_nc_u32_e32 v5, s1, v4
	v_cmp_le_u32_e32 vcc_lo, s1, v4
	v_cndmask_b32_e32 v4, v4, v5, vcc_lo
	s_delay_alu instid0(VALU_DEP_1) | instskip(SKIP_1) | instid1(VALU_DEP_2)
	v_subrev_nc_u32_e32 v5, s1, v4
	v_cmp_le_u32_e32 vcc_lo, s1, v4
	v_cndmask_b32_e32 v4, v4, v5, vcc_lo
	s_delay_alu instid0(VALU_DEP_1) | instskip(NEXT) | instid1(VALU_DEP_1)
	v_xor_b32_e32 v4, v4, v3
	v_sub_nc_u32_e32 v3, v4, v3
	s_delay_alu instid0(VALU_DEP_1)
	v_cmp_gt_i32_e32 vcc_lo, s18, v3
	v_cndmask_b32_e64 v16, 0, 1, vcc_lo
.LBB28_294:
	s_wait_xcnt 0x0
	s_or_b32 exec_lo, exec_lo, s0
	v_or_b32_e32 v3, 0x180, v0
	v_mov_b32_e32 v15, 0
	s_delay_alu instid0(VALU_DEP_2)
	v_cmp_gt_u32_e64 s3, s10, v3
	s_and_saveexec_b32 s0, s3
	s_cbranch_execz .LBB28_296
; %bb.295:
	global_load_b32 v7, v0, s[6:7] offset:1536 scale_offset
	s_abs_i32 s1, s19
	v_add_nc_u32_e32 v3, s9, v3
	s_cvt_f32_u32 s2, s1
	s_sub_co_i32 s11, 0, s1
	s_delay_alu instid0(SALU_CYCLE_2) | instskip(SKIP_1) | instid1(TRANS32_DEP_1)
	v_rcp_iflag_f32_e32 v4, s2
	v_nop
	v_readfirstlane_b32 s2, v4
	v_sub_nc_u32_e32 v4, 0, v3
	s_mul_f32 s2, s2, 0x4f7ffffe
	s_delay_alu instid0(VALU_DEP_1) | instskip(NEXT) | instid1(SALU_CYCLE_2)
	v_max_i32_e32 v4, v3, v4
	s_cvt_u32_f32 s2, s2
	s_delay_alu instid0(SALU_CYCLE_3) | instskip(NEXT) | instid1(SALU_CYCLE_1)
	s_mul_i32 s11, s11, s2
	s_mul_hi_u32 s11, s2, s11
	s_delay_alu instid0(SALU_CYCLE_1) | instskip(NEXT) | instid1(SALU_CYCLE_1)
	s_add_co_i32 s2, s2, s11
	v_mul_hi_u32 v5, v4, s2
	s_delay_alu instid0(VALU_DEP_1) | instskip(NEXT) | instid1(VALU_DEP_1)
	v_mul_lo_u32 v5, v5, s1
	v_dual_sub_nc_u32 v4, v4, v5 :: v_dual_ashrrev_i32 v3, 31, v3
	s_delay_alu instid0(VALU_DEP_1) | instskip(SKIP_1) | instid1(VALU_DEP_2)
	v_subrev_nc_u32_e32 v5, s1, v4
	v_cmp_le_u32_e32 vcc_lo, s1, v4
	v_cndmask_b32_e32 v4, v4, v5, vcc_lo
	s_delay_alu instid0(VALU_DEP_1) | instskip(SKIP_1) | instid1(VALU_DEP_2)
	v_subrev_nc_u32_e32 v5, s1, v4
	v_cmp_le_u32_e32 vcc_lo, s1, v4
	v_cndmask_b32_e32 v4, v4, v5, vcc_lo
	s_delay_alu instid0(VALU_DEP_1) | instskip(NEXT) | instid1(VALU_DEP_1)
	v_xor_b32_e32 v4, v4, v3
	v_sub_nc_u32_e32 v3, v4, v3
	s_delay_alu instid0(VALU_DEP_1)
	v_cmp_gt_i32_e32 vcc_lo, s18, v3
	v_cndmask_b32_e64 v15, 0, 1, vcc_lo
.LBB28_296:
	s_wait_xcnt 0x0
	s_or_b32 exec_lo, exec_lo, s0
	v_or_b32_e32 v3, 0x200, v0
	v_dual_mov_b32 v12, 0 :: v_dual_mov_b32 v5, 0
	v_mov_b32_e32 v10, 0
	s_delay_alu instid0(VALU_DEP_3)
	v_cmp_gt_u32_e64 s2, s10, v3
	s_and_saveexec_b32 s0, s2
	s_cbranch_execz .LBB28_298
; %bb.297:
	global_load_b32 v10, v0, s[6:7] offset:2048 scale_offset
	s_abs_i32 s1, s19
	v_add_nc_u32_e32 v3, s9, v3
	s_cvt_f32_u32 s11, s1
	s_sub_co_i32 s12, 0, s1
	s_delay_alu instid0(SALU_CYCLE_2) | instskip(SKIP_1) | instid1(TRANS32_DEP_1)
	v_rcp_iflag_f32_e32 v4, s11
	v_nop
	v_readfirstlane_b32 s11, v4
	v_sub_nc_u32_e32 v4, 0, v3
	s_mul_f32 s11, s11, 0x4f7ffffe
	s_delay_alu instid0(VALU_DEP_1) | instskip(NEXT) | instid1(SALU_CYCLE_2)
	v_max_i32_e32 v4, v3, v4
	s_cvt_u32_f32 s11, s11
	s_delay_alu instid0(SALU_CYCLE_3) | instskip(NEXT) | instid1(SALU_CYCLE_1)
	s_mul_i32 s12, s12, s11
	s_mul_hi_u32 s12, s11, s12
	s_delay_alu instid0(SALU_CYCLE_1) | instskip(NEXT) | instid1(SALU_CYCLE_1)
	s_add_co_i32 s11, s11, s12
	v_mul_hi_u32 v6, v4, s11
	s_delay_alu instid0(VALU_DEP_1) | instskip(NEXT) | instid1(VALU_DEP_1)
	v_mul_lo_u32 v6, v6, s1
	v_dual_sub_nc_u32 v4, v4, v6 :: v_dual_ashrrev_i32 v3, 31, v3
	s_delay_alu instid0(VALU_DEP_1) | instskip(SKIP_1) | instid1(VALU_DEP_2)
	v_subrev_nc_u32_e32 v6, s1, v4
	v_cmp_le_u32_e32 vcc_lo, s1, v4
	v_cndmask_b32_e32 v4, v4, v6, vcc_lo
	s_delay_alu instid0(VALU_DEP_1) | instskip(SKIP_1) | instid1(VALU_DEP_2)
	v_subrev_nc_u32_e32 v6, s1, v4
	v_cmp_le_u32_e32 vcc_lo, s1, v4
	v_cndmask_b32_e32 v4, v4, v6, vcc_lo
	s_delay_alu instid0(VALU_DEP_1) | instskip(NEXT) | instid1(VALU_DEP_1)
	v_xor_b32_e32 v4, v4, v3
	v_sub_nc_u32_e32 v3, v4, v3
	s_delay_alu instid0(VALU_DEP_1)
	v_cmp_gt_i32_e32 vcc_lo, s18, v3
	v_cndmask_b32_e64 v12, 0, 1, vcc_lo
.LBB28_298:
	s_wait_xcnt 0x0
	s_or_b32 exec_lo, exec_lo, s0
	v_or_b32_e32 v3, 0x280, v0
	v_mov_b32_e32 v11, 0
	s_delay_alu instid0(VALU_DEP_2)
	v_cmp_gt_u32_e64 s1, s10, v3
	s_and_saveexec_b32 s0, s1
	s_cbranch_execz .LBB28_300
; %bb.299:
	global_load_b32 v5, v0, s[6:7] offset:2560 scale_offset
	s_abs_i32 s11, s19
	v_add_nc_u32_e32 v3, s9, v3
	s_cvt_f32_u32 s12, s11
	s_sub_co_i32 s13, 0, s11
	s_delay_alu instid0(SALU_CYCLE_2) | instskip(SKIP_1) | instid1(TRANS32_DEP_1)
	v_rcp_iflag_f32_e32 v4, s12
	v_nop
	v_readfirstlane_b32 s12, v4
	v_sub_nc_u32_e32 v4, 0, v3
	s_mul_f32 s12, s12, 0x4f7ffffe
	s_delay_alu instid0(VALU_DEP_1) | instskip(NEXT) | instid1(SALU_CYCLE_2)
	v_max_i32_e32 v4, v3, v4
	s_cvt_u32_f32 s12, s12
	s_delay_alu instid0(SALU_CYCLE_3) | instskip(NEXT) | instid1(SALU_CYCLE_1)
	s_mul_i32 s13, s13, s12
	s_mul_hi_u32 s13, s12, s13
	s_delay_alu instid0(SALU_CYCLE_1) | instskip(NEXT) | instid1(SALU_CYCLE_1)
	s_add_co_i32 s12, s12, s13
	v_mul_hi_u32 v6, v4, s12
	s_delay_alu instid0(VALU_DEP_1) | instskip(NEXT) | instid1(VALU_DEP_1)
	v_mul_lo_u32 v6, v6, s11
	v_dual_sub_nc_u32 v4, v4, v6 :: v_dual_ashrrev_i32 v3, 31, v3
	s_delay_alu instid0(VALU_DEP_1) | instskip(SKIP_1) | instid1(VALU_DEP_2)
	v_subrev_nc_u32_e32 v6, s11, v4
	v_cmp_le_u32_e32 vcc_lo, s11, v4
	v_cndmask_b32_e32 v4, v4, v6, vcc_lo
	s_delay_alu instid0(VALU_DEP_1) | instskip(SKIP_1) | instid1(VALU_DEP_2)
	v_subrev_nc_u32_e32 v6, s11, v4
	v_cmp_le_u32_e32 vcc_lo, s11, v4
	v_cndmask_b32_e32 v4, v4, v6, vcc_lo
	s_delay_alu instid0(VALU_DEP_1) | instskip(NEXT) | instid1(VALU_DEP_1)
	v_xor_b32_e32 v4, v4, v3
	v_sub_nc_u32_e32 v3, v4, v3
	s_delay_alu instid0(VALU_DEP_1)
	v_cmp_gt_i32_e32 vcc_lo, s18, v3
	v_cndmask_b32_e64 v11, 0, 1, vcc_lo
.LBB28_300:
	s_wait_xcnt 0x0
	s_or_b32 exec_lo, exec_lo, s0
	v_or_b32_e32 v3, 0x300, v0
	v_dual_mov_b32 v6, 0 :: v_dual_mov_b32 v8, 0
	v_mov_b32_e32 v9, 0
	s_delay_alu instid0(VALU_DEP_3)
	v_cmp_gt_u32_e64 s0, s10, v3
	s_and_saveexec_b32 s11, s0
	s_cbranch_execz .LBB28_302
; %bb.301:
	global_load_b32 v6, v0, s[6:7] offset:3072 scale_offset
	s_abs_i32 s12, s19
	v_add_nc_u32_e32 v3, s9, v3
	s_cvt_f32_u32 s13, s12
	s_sub_co_i32 s14, 0, s12
	s_delay_alu instid0(SALU_CYCLE_2) | instskip(SKIP_1) | instid1(TRANS32_DEP_1)
	v_rcp_iflag_f32_e32 v4, s13
	v_nop
	v_readfirstlane_b32 s13, v4
	v_sub_nc_u32_e32 v4, 0, v3
	s_mul_f32 s13, s13, 0x4f7ffffe
	s_delay_alu instid0(VALU_DEP_1) | instskip(NEXT) | instid1(SALU_CYCLE_2)
	v_max_i32_e32 v4, v3, v4
	s_cvt_u32_f32 s13, s13
	s_delay_alu instid0(SALU_CYCLE_3) | instskip(NEXT) | instid1(SALU_CYCLE_1)
	s_mul_i32 s14, s14, s13
	s_mul_hi_u32 s14, s13, s14
	s_delay_alu instid0(SALU_CYCLE_1) | instskip(NEXT) | instid1(SALU_CYCLE_1)
	s_add_co_i32 s13, s13, s14
	v_mul_hi_u32 v9, v4, s13
	s_delay_alu instid0(VALU_DEP_1) | instskip(NEXT) | instid1(VALU_DEP_1)
	v_mul_lo_u32 v9, v9, s12
	v_dual_sub_nc_u32 v4, v4, v9 :: v_dual_ashrrev_i32 v3, 31, v3
	s_delay_alu instid0(VALU_DEP_1) | instskip(SKIP_1) | instid1(VALU_DEP_2)
	v_subrev_nc_u32_e32 v9, s12, v4
	v_cmp_le_u32_e32 vcc_lo, s12, v4
	v_cndmask_b32_e32 v4, v4, v9, vcc_lo
	s_delay_alu instid0(VALU_DEP_1) | instskip(SKIP_1) | instid1(VALU_DEP_2)
	v_subrev_nc_u32_e32 v9, s12, v4
	v_cmp_le_u32_e32 vcc_lo, s12, v4
	v_cndmask_b32_e32 v4, v4, v9, vcc_lo
	s_delay_alu instid0(VALU_DEP_1) | instskip(NEXT) | instid1(VALU_DEP_1)
	v_xor_b32_e32 v4, v4, v3
	v_sub_nc_u32_e32 v3, v4, v3
	s_delay_alu instid0(VALU_DEP_1)
	v_cmp_gt_i32_e32 vcc_lo, s18, v3
	v_cndmask_b32_e64 v9, 0, 1, vcc_lo
.LBB28_302:
	s_wait_xcnt 0x0
	s_or_b32 exec_lo, exec_lo, s11
	v_or_b32_e32 v3, 0x380, v0
	v_mov_b32_e32 v4, 0
	s_delay_alu instid0(VALU_DEP_2)
	v_cmp_gt_u32_e32 vcc_lo, s10, v3
	s_and_saveexec_b32 s11, vcc_lo
	s_cbranch_execnz .LBB28_487
; %bb.303:
	s_or_b32 exec_lo, exec_lo, s11
	s_wait_loadcnt 0x0
	v_mov_b32_e32 v3, v2
	s_and_saveexec_b32 s7, s5
	s_cbranch_execnz .LBB28_488
.LBB28_304:
	s_or_b32 exec_lo, exec_lo, s7
	s_and_saveexec_b32 s6, s4
	s_cbranch_execnz .LBB28_495
.LBB28_305:
	s_or_b32 exec_lo, exec_lo, s6
	s_and_saveexec_b32 s5, s3
	s_cbranch_execnz .LBB28_502
.LBB28_306:
	s_or_b32 exec_lo, exec_lo, s5
	s_and_saveexec_b32 s4, s2
	s_cbranch_execnz .LBB28_509
.LBB28_307:
	s_or_b32 exec_lo, exec_lo, s4
	s_and_saveexec_b32 s3, s1
	s_cbranch_execnz .LBB28_516
.LBB28_308:
	s_or_b32 exec_lo, exec_lo, s3
	s_and_saveexec_b32 s2, s0
	s_cbranch_execnz .LBB28_523
.LBB28_309:
	s_or_b32 exec_lo, exec_lo, s2
	s_and_saveexec_b32 s1, vcc_lo
	s_cbranch_execnz .LBB28_530
	s_branch .LBB28_537
.LBB28_310:
	global_load_b32 v4, v0, s[14:15] offset:7680 scale_offset
	s_wait_xcnt 0x0
	s_abs_i32 s15, s19
	v_add_nc_u32_e32 v3, s33, v3
	s_cvt_f32_u32 s14, s15
	s_sub_co_i32 s33, 0, s15
	s_delay_alu instid0(SALU_CYCLE_2) | instskip(SKIP_1) | instid1(TRANS32_DEP_1)
	v_rcp_iflag_f32_e32 v8, s14
	v_nop
	v_readfirstlane_b32 s14, v8
	v_sub_nc_u32_e32 v8, 0, v3
	s_mul_f32 s14, s14, 0x4f7ffffe
	s_delay_alu instid0(VALU_DEP_1) | instskip(NEXT) | instid1(SALU_CYCLE_2)
	v_max_i32_e32 v8, v3, v8
	s_cvt_u32_f32 s14, s14
	s_delay_alu instid0(SALU_CYCLE_3) | instskip(NEXT) | instid1(SALU_CYCLE_1)
	s_mul_i32 s33, s33, s14
	s_mul_hi_u32 s33, s14, s33
	s_delay_alu instid0(SALU_CYCLE_1) | instskip(NEXT) | instid1(SALU_CYCLE_1)
	s_add_co_i32 s14, s14, s33
	v_mul_hi_u32 v34, v8, s14
	s_delay_alu instid0(VALU_DEP_1) | instskip(NEXT) | instid1(VALU_DEP_1)
	v_mul_lo_u32 v34, v34, s15
	v_dual_sub_nc_u32 v8, v8, v34 :: v_dual_ashrrev_i32 v3, 31, v3
	s_delay_alu instid0(VALU_DEP_1) | instskip(SKIP_1) | instid1(VALU_DEP_1)
	v_subrev_nc_u32_e32 v34, s15, v8
	v_cmp_le_u32_e64 s14, s15, v8
	v_cndmask_b32_e64 v8, v8, v34, s14
	s_delay_alu instid0(VALU_DEP_1) | instskip(SKIP_1) | instid1(VALU_DEP_1)
	v_subrev_nc_u32_e32 v34, s15, v8
	v_cmp_le_u32_e64 s14, s15, v8
	v_cndmask_b32_e64 v8, v8, v34, s14
	s_delay_alu instid0(VALU_DEP_1) | instskip(NEXT) | instid1(VALU_DEP_1)
	v_xor_b32_e32 v8, v8, v3
	v_sub_nc_u32_e32 v3, v8, v3
	s_delay_alu instid0(VALU_DEP_1) | instskip(NEXT) | instid1(VALU_DEP_1)
	v_cmp_gt_i32_e64 s14, s18, v3
	v_cndmask_b32_e64 v8, 0, 1, s14
	s_or_b32 exec_lo, exec_lo, s35
	s_wait_loadcnt 0x1
	v_mov_b32_e32 v3, v2
	s_and_saveexec_b32 s15, s13
	s_cbranch_execz .LBB28_272
.LBB28_311:
	v_and_b32_e32 v1, 1, v1
	v_and_b32_e32 v3, 1, v33
	s_delay_alu instid0(VALU_DEP_2) | instskip(NEXT) | instid1(VALU_DEP_2)
	v_cmp_eq_u32_e64 s13, 1, v1
	v_cmp_eq_u32_e64 s14, 1, v3
                                        ; implicit-def: $vgpr1
	s_and_b32 s14, s13, s14
	s_delay_alu instid0(SALU_CYCLE_1) | instskip(NEXT) | instid1(SALU_CYCLE_1)
	s_xor_b32 s14, s14, -1
	s_and_saveexec_b32 s33, s14
	s_delay_alu instid0(SALU_CYCLE_1)
	s_xor_b32 s14, exec_lo, s33
	s_cbranch_execz .LBB28_315
; %bb.312:
	v_mov_b32_e32 v1, 1
	s_xor_b32 s33, s13, -1
	s_delay_alu instid0(SALU_CYCLE_1)
	s_and_saveexec_b32 s13, s33
; %bb.313:
	v_and_b32_e32 v1, 0xffff, v33
	v_mov_b32_e32 v2, v29
; %bb.314:
	s_or_b32 exec_lo, exec_lo, s13
                                        ; implicit-def: $vgpr29
.LBB28_315:
	s_or_saveexec_b32 s14, s14
	s_delay_alu instid0(VALU_DEP_1)
	v_mov_b32_e32 v33, v2
	s_xor_b32 exec_lo, exec_lo, s14
; %bb.316:
	v_cmp_lt_f32_e64 s13, v29, v2
	s_delay_alu instid0(VALU_DEP_1) | instskip(SKIP_1) | instid1(VALU_DEP_1)
	v_dual_mov_b32 v1, 1 :: v_dual_cndmask_b32 v33, v2, v29, s13
	v_cmp_lt_f32_e64 s13, v2, v29
	v_cndmask_b32_e64 v2, v2, v29, s13
; %bb.317:
	s_or_b32 exec_lo, exec_lo, s14
	s_delay_alu instid0(VALU_DEP_1)
	v_dual_mov_b32 v3, v2 :: v_dual_mov_b32 v2, v33
	s_or_b32 exec_lo, exec_lo, s15
	s_and_saveexec_b32 s14, s12
	s_cbranch_execz .LBB28_273
.LBB28_318:
	v_and_b32_e32 v1, 1, v1
	v_and_b32_e32 v29, 1, v32
	s_delay_alu instid0(VALU_DEP_2) | instskip(NEXT) | instid1(VALU_DEP_2)
	v_cmp_eq_u32_e64 s12, 1, v1
	v_cmp_eq_u32_e64 s13, 1, v29
                                        ; implicit-def: $vgpr1
	s_and_b32 s13, s12, s13
	s_delay_alu instid0(SALU_CYCLE_1) | instskip(NEXT) | instid1(SALU_CYCLE_1)
	s_xor_b32 s13, s13, -1
	s_and_saveexec_b32 s15, s13
	s_delay_alu instid0(SALU_CYCLE_1)
	s_xor_b32 s13, exec_lo, s15
	s_cbranch_execz .LBB28_322
; %bb.319:
	v_mov_b32_e32 v1, 1
	s_xor_b32 s15, s12, -1
	s_delay_alu instid0(SALU_CYCLE_1)
	s_and_saveexec_b32 s12, s15
; %bb.320:
	v_and_b32_e32 v1, 0xffff, v32
	v_dual_mov_b32 v3, v30 :: v_dual_mov_b32 v2, v30
; %bb.321:
	s_or_b32 exec_lo, exec_lo, s12
                                        ; implicit-def: $vgpr30
.LBB28_322:
	s_and_not1_saveexec_b32 s13, s13
; %bb.323:
	s_delay_alu instid0(VALU_DEP_1) | instskip(NEXT) | instid1(VALU_DEP_1)
	v_cmp_lt_f32_e64 s12, v30, v2
	v_dual_mov_b32 v1, 1 :: v_dual_cndmask_b32 v2, v2, v30, s12
	v_cmp_lt_f32_e64 s12, v3, v30
	s_delay_alu instid0(VALU_DEP_1)
	v_cndmask_b32_e64 v3, v3, v30, s12
; %bb.324:
	s_or_b32 exec_lo, exec_lo, s13
	s_delay_alu instid0(SALU_CYCLE_1)
	s_or_b32 exec_lo, exec_lo, s14
	s_and_saveexec_b32 s13, s11
	s_cbranch_execz .LBB28_274
.LBB28_325:
	v_and_b32_e32 v1, 1, v1
	v_and_b32_e32 v29, 1, v31
	s_delay_alu instid0(VALU_DEP_2) | instskip(NEXT) | instid1(VALU_DEP_2)
	v_cmp_eq_u32_e64 s11, 1, v1
	v_cmp_eq_u32_e64 s12, 1, v29
                                        ; implicit-def: $vgpr1
	s_and_b32 s12, s11, s12
	s_delay_alu instid0(SALU_CYCLE_1) | instskip(NEXT) | instid1(SALU_CYCLE_1)
	s_xor_b32 s12, s12, -1
	s_and_saveexec_b32 s14, s12
	s_delay_alu instid0(SALU_CYCLE_1)
	s_xor_b32 s12, exec_lo, s14
	s_cbranch_execz .LBB28_329
; %bb.326:
	v_mov_b32_e32 v1, 1
	s_xor_b32 s14, s11, -1
	s_delay_alu instid0(SALU_CYCLE_1)
	s_and_saveexec_b32 s11, s14
; %bb.327:
	v_and_b32_e32 v1, 0xffff, v31
	v_dual_mov_b32 v3, v25 :: v_dual_mov_b32 v2, v25
; %bb.328:
	s_or_b32 exec_lo, exec_lo, s11
                                        ; implicit-def: $vgpr25
.LBB28_329:
	s_and_not1_saveexec_b32 s12, s12
; %bb.330:
	s_delay_alu instid0(VALU_DEP_1) | instskip(NEXT) | instid1(VALU_DEP_1)
	v_cmp_lt_f32_e64 s11, v25, v2
	v_dual_mov_b32 v1, 1 :: v_dual_cndmask_b32 v2, v2, v25, s11
	v_cmp_lt_f32_e64 s11, v3, v25
	s_delay_alu instid0(VALU_DEP_1)
	v_cndmask_b32_e64 v3, v3, v25, s11
; %bb.331:
	s_or_b32 exec_lo, exec_lo, s12
	s_delay_alu instid0(SALU_CYCLE_1)
	s_or_b32 exec_lo, exec_lo, s13
	s_and_saveexec_b32 s12, s10
	s_cbranch_execz .LBB28_275
.LBB28_332:
	v_and_b32_e32 v1, 1, v1
	v_and_b32_e32 v25, 1, v28
	s_delay_alu instid0(VALU_DEP_2) | instskip(NEXT) | instid1(VALU_DEP_2)
	v_cmp_eq_u32_e64 s10, 1, v1
	v_cmp_eq_u32_e64 s11, 1, v25
                                        ; implicit-def: $vgpr1
	s_and_b32 s11, s10, s11
	s_delay_alu instid0(SALU_CYCLE_1) | instskip(NEXT) | instid1(SALU_CYCLE_1)
	s_xor_b32 s11, s11, -1
	s_and_saveexec_b32 s13, s11
	s_delay_alu instid0(SALU_CYCLE_1)
	s_xor_b32 s11, exec_lo, s13
	s_cbranch_execz .LBB28_336
; %bb.333:
	v_mov_b32_e32 v1, 1
	s_xor_b32 s13, s10, -1
	s_delay_alu instid0(SALU_CYCLE_1)
	s_and_saveexec_b32 s10, s13
; %bb.334:
	v_and_b32_e32 v1, 0xffff, v28
	v_dual_mov_b32 v3, v26 :: v_dual_mov_b32 v2, v26
; %bb.335:
	s_or_b32 exec_lo, exec_lo, s10
                                        ; implicit-def: $vgpr26
.LBB28_336:
	s_and_not1_saveexec_b32 s11, s11
; %bb.337:
	s_delay_alu instid0(VALU_DEP_1) | instskip(NEXT) | instid1(VALU_DEP_1)
	v_cmp_lt_f32_e64 s10, v26, v2
	v_dual_mov_b32 v1, 1 :: v_dual_cndmask_b32 v2, v2, v26, s10
	v_cmp_lt_f32_e64 s10, v3, v26
	s_delay_alu instid0(VALU_DEP_1)
	v_cndmask_b32_e64 v3, v3, v26, s10
; %bb.338:
	s_or_b32 exec_lo, exec_lo, s11
	s_delay_alu instid0(SALU_CYCLE_1)
	s_or_b32 exec_lo, exec_lo, s12
	s_and_saveexec_b32 s11, s9
	s_cbranch_execz .LBB28_276
.LBB28_339:
	v_and_b32_e32 v1, 1, v1
	v_and_b32_e32 v25, 1, v27
	s_delay_alu instid0(VALU_DEP_2) | instskip(NEXT) | instid1(VALU_DEP_2)
	v_cmp_eq_u32_e64 s9, 1, v1
	v_cmp_eq_u32_e64 s10, 1, v25
                                        ; implicit-def: $vgpr1
	s_and_b32 s10, s9, s10
	s_delay_alu instid0(SALU_CYCLE_1) | instskip(NEXT) | instid1(SALU_CYCLE_1)
	s_xor_b32 s10, s10, -1
	s_and_saveexec_b32 s12, s10
	s_delay_alu instid0(SALU_CYCLE_1)
	s_xor_b32 s10, exec_lo, s12
	s_cbranch_execz .LBB28_343
; %bb.340:
	v_mov_b32_e32 v1, 1
	s_xor_b32 s12, s9, -1
	s_delay_alu instid0(SALU_CYCLE_1)
	s_and_saveexec_b32 s9, s12
; %bb.341:
	v_and_b32_e32 v1, 0xffff, v27
	v_dual_mov_b32 v3, v21 :: v_dual_mov_b32 v2, v21
; %bb.342:
	s_or_b32 exec_lo, exec_lo, s9
                                        ; implicit-def: $vgpr21
.LBB28_343:
	s_and_not1_saveexec_b32 s10, s10
; %bb.344:
	s_delay_alu instid0(VALU_DEP_1) | instskip(NEXT) | instid1(VALU_DEP_1)
	v_cmp_lt_f32_e64 s9, v21, v2
	v_dual_mov_b32 v1, 1 :: v_dual_cndmask_b32 v2, v2, v21, s9
	v_cmp_lt_f32_e64 s9, v3, v21
	s_delay_alu instid0(VALU_DEP_1)
	v_cndmask_b32_e64 v3, v3, v21, s9
; %bb.345:
	s_or_b32 exec_lo, exec_lo, s10
	s_delay_alu instid0(SALU_CYCLE_1)
	s_or_b32 exec_lo, exec_lo, s11
	s_and_saveexec_b32 s10, s8
	s_cbranch_execz .LBB28_277
.LBB28_346:
	v_and_b32_e32 v1, 1, v1
	v_and_b32_e32 v21, 1, v24
	s_delay_alu instid0(VALU_DEP_2) | instskip(NEXT) | instid1(VALU_DEP_2)
	v_cmp_eq_u32_e64 s8, 1, v1
	v_cmp_eq_u32_e64 s9, 1, v21
                                        ; implicit-def: $vgpr1
	s_and_b32 s9, s8, s9
	s_delay_alu instid0(SALU_CYCLE_1) | instskip(NEXT) | instid1(SALU_CYCLE_1)
	s_xor_b32 s9, s9, -1
	s_and_saveexec_b32 s11, s9
	s_delay_alu instid0(SALU_CYCLE_1)
	s_xor_b32 s9, exec_lo, s11
	s_cbranch_execz .LBB28_350
; %bb.347:
	v_mov_b32_e32 v1, 1
	s_xor_b32 s11, s8, -1
	s_delay_alu instid0(SALU_CYCLE_1)
	s_and_saveexec_b32 s8, s11
; %bb.348:
	v_and_b32_e32 v1, 0xffff, v24
	v_dual_mov_b32 v3, v22 :: v_dual_mov_b32 v2, v22
; %bb.349:
	s_or_b32 exec_lo, exec_lo, s8
                                        ; implicit-def: $vgpr22
.LBB28_350:
	s_and_not1_saveexec_b32 s9, s9
; %bb.351:
	s_delay_alu instid0(VALU_DEP_1) | instskip(NEXT) | instid1(VALU_DEP_1)
	v_cmp_lt_f32_e64 s8, v22, v2
	v_dual_mov_b32 v1, 1 :: v_dual_cndmask_b32 v2, v2, v22, s8
	v_cmp_lt_f32_e64 s8, v3, v22
	s_delay_alu instid0(VALU_DEP_1)
	v_cndmask_b32_e64 v3, v3, v22, s8
; %bb.352:
	s_or_b32 exec_lo, exec_lo, s9
	s_delay_alu instid0(SALU_CYCLE_1)
	s_or_b32 exec_lo, exec_lo, s10
	s_and_saveexec_b32 s9, s7
	s_cbranch_execz .LBB28_278
.LBB28_353:
	v_and_b32_e32 v1, 1, v1
	v_and_b32_e32 v21, 1, v23
	s_delay_alu instid0(VALU_DEP_2) | instskip(NEXT) | instid1(VALU_DEP_2)
	v_cmp_eq_u32_e64 s7, 1, v1
	v_cmp_eq_u32_e64 s8, 1, v21
                                        ; implicit-def: $vgpr1
	s_and_b32 s8, s7, s8
	s_delay_alu instid0(SALU_CYCLE_1) | instskip(NEXT) | instid1(SALU_CYCLE_1)
	s_xor_b32 s8, s8, -1
	s_and_saveexec_b32 s10, s8
	s_delay_alu instid0(SALU_CYCLE_1)
	s_xor_b32 s8, exec_lo, s10
	s_cbranch_execz .LBB28_357
; %bb.354:
	v_mov_b32_e32 v1, 1
	s_xor_b32 s10, s7, -1
	s_delay_alu instid0(SALU_CYCLE_1)
	s_and_saveexec_b32 s7, s10
; %bb.355:
	v_and_b32_e32 v1, 0xffff, v23
	v_dual_mov_b32 v3, v17 :: v_dual_mov_b32 v2, v17
; %bb.356:
	s_or_b32 exec_lo, exec_lo, s7
                                        ; implicit-def: $vgpr17
.LBB28_357:
	s_and_not1_saveexec_b32 s8, s8
; %bb.358:
	s_delay_alu instid0(VALU_DEP_1) | instskip(NEXT) | instid1(VALU_DEP_1)
	v_cmp_lt_f32_e64 s7, v17, v2
	v_dual_mov_b32 v1, 1 :: v_dual_cndmask_b32 v2, v2, v17, s7
	v_cmp_lt_f32_e64 s7, v3, v17
	s_delay_alu instid0(VALU_DEP_1)
	v_cndmask_b32_e64 v3, v3, v17, s7
; %bb.359:
	s_or_b32 exec_lo, exec_lo, s8
	s_delay_alu instid0(SALU_CYCLE_1)
	s_or_b32 exec_lo, exec_lo, s9
	s_and_saveexec_b32 s8, s6
	s_cbranch_execz .LBB28_279
.LBB28_360:
	v_and_b32_e32 v1, 1, v1
	v_and_b32_e32 v17, 1, v20
	s_delay_alu instid0(VALU_DEP_2) | instskip(NEXT) | instid1(VALU_DEP_2)
	v_cmp_eq_u32_e64 s6, 1, v1
	v_cmp_eq_u32_e64 s7, 1, v17
                                        ; implicit-def: $vgpr1
	s_and_b32 s7, s6, s7
	s_delay_alu instid0(SALU_CYCLE_1) | instskip(NEXT) | instid1(SALU_CYCLE_1)
	s_xor_b32 s7, s7, -1
	s_and_saveexec_b32 s9, s7
	s_delay_alu instid0(SALU_CYCLE_1)
	s_xor_b32 s7, exec_lo, s9
	s_cbranch_execz .LBB28_364
; %bb.361:
	v_mov_b32_e32 v1, 1
	s_xor_b32 s9, s6, -1
	s_delay_alu instid0(SALU_CYCLE_1)
	s_and_saveexec_b32 s6, s9
; %bb.362:
	v_and_b32_e32 v1, 0xffff, v20
	v_dual_mov_b32 v3, v18 :: v_dual_mov_b32 v2, v18
; %bb.363:
	s_or_b32 exec_lo, exec_lo, s6
                                        ; implicit-def: $vgpr18
.LBB28_364:
	s_and_not1_saveexec_b32 s7, s7
; %bb.365:
	s_delay_alu instid0(VALU_DEP_1) | instskip(NEXT) | instid1(VALU_DEP_1)
	v_cmp_lt_f32_e64 s6, v18, v2
	v_dual_mov_b32 v1, 1 :: v_dual_cndmask_b32 v2, v2, v18, s6
	v_cmp_lt_f32_e64 s6, v3, v18
	s_delay_alu instid0(VALU_DEP_1)
	v_cndmask_b32_e64 v3, v3, v18, s6
; %bb.366:
	s_or_b32 exec_lo, exec_lo, s7
	s_delay_alu instid0(SALU_CYCLE_1)
	s_or_b32 exec_lo, exec_lo, s8
	s_and_saveexec_b32 s7, s5
	s_cbranch_execz .LBB28_280
.LBB28_367:
	v_and_b32_e32 v1, 1, v1
	v_and_b32_e32 v17, 1, v19
	s_delay_alu instid0(VALU_DEP_2) | instskip(NEXT) | instid1(VALU_DEP_2)
	v_cmp_eq_u32_e64 s5, 1, v1
	v_cmp_eq_u32_e64 s6, 1, v17
                                        ; implicit-def: $vgpr1
	s_and_b32 s6, s5, s6
	s_delay_alu instid0(SALU_CYCLE_1) | instskip(NEXT) | instid1(SALU_CYCLE_1)
	s_xor_b32 s6, s6, -1
	s_and_saveexec_b32 s8, s6
	s_delay_alu instid0(SALU_CYCLE_1)
	s_xor_b32 s6, exec_lo, s8
	s_cbranch_execz .LBB28_371
; %bb.368:
	v_mov_b32_e32 v1, 1
	s_xor_b32 s8, s5, -1
	s_delay_alu instid0(SALU_CYCLE_1)
	s_and_saveexec_b32 s5, s8
; %bb.369:
	v_and_b32_e32 v1, 0xffff, v19
	v_dual_mov_b32 v3, v13 :: v_dual_mov_b32 v2, v13
; %bb.370:
	s_or_b32 exec_lo, exec_lo, s5
                                        ; implicit-def: $vgpr13
.LBB28_371:
	s_and_not1_saveexec_b32 s6, s6
; %bb.372:
	s_delay_alu instid0(VALU_DEP_1) | instskip(NEXT) | instid1(VALU_DEP_1)
	v_cmp_lt_f32_e64 s5, v13, v2
	v_dual_mov_b32 v1, 1 :: v_dual_cndmask_b32 v2, v2, v13, s5
	v_cmp_lt_f32_e64 s5, v3, v13
	s_delay_alu instid0(VALU_DEP_1)
	v_cndmask_b32_e64 v3, v3, v13, s5
; %bb.373:
	s_or_b32 exec_lo, exec_lo, s6
	s_delay_alu instid0(SALU_CYCLE_1)
	s_or_b32 exec_lo, exec_lo, s7
	s_and_saveexec_b32 s6, s4
	s_cbranch_execz .LBB28_281
.LBB28_374:
	v_and_b32_e32 v1, 1, v1
	v_and_b32_e32 v13, 1, v16
	s_delay_alu instid0(VALU_DEP_2) | instskip(NEXT) | instid1(VALU_DEP_2)
	v_cmp_eq_u32_e64 s4, 1, v1
	v_cmp_eq_u32_e64 s5, 1, v13
                                        ; implicit-def: $vgpr1
	s_and_b32 s5, s4, s5
	s_delay_alu instid0(SALU_CYCLE_1) | instskip(NEXT) | instid1(SALU_CYCLE_1)
	s_xor_b32 s5, s5, -1
	s_and_saveexec_b32 s7, s5
	s_delay_alu instid0(SALU_CYCLE_1)
	s_xor_b32 s5, exec_lo, s7
	s_cbranch_execz .LBB28_378
; %bb.375:
	v_mov_b32_e32 v1, 1
	s_xor_b32 s7, s4, -1
	s_delay_alu instid0(SALU_CYCLE_1)
	s_and_saveexec_b32 s4, s7
; %bb.376:
	v_and_b32_e32 v1, 0xffff, v16
	v_dual_mov_b32 v3, v14 :: v_dual_mov_b32 v2, v14
; %bb.377:
	s_or_b32 exec_lo, exec_lo, s4
                                        ; implicit-def: $vgpr14
.LBB28_378:
	s_and_not1_saveexec_b32 s5, s5
; %bb.379:
	s_delay_alu instid0(VALU_DEP_1) | instskip(NEXT) | instid1(VALU_DEP_1)
	v_cmp_lt_f32_e64 s4, v14, v2
	v_dual_mov_b32 v1, 1 :: v_dual_cndmask_b32 v2, v2, v14, s4
	v_cmp_lt_f32_e64 s4, v3, v14
	s_delay_alu instid0(VALU_DEP_1)
	v_cndmask_b32_e64 v3, v3, v14, s4
; %bb.380:
	s_or_b32 exec_lo, exec_lo, s5
	s_delay_alu instid0(SALU_CYCLE_1)
	s_or_b32 exec_lo, exec_lo, s6
	s_and_saveexec_b32 s5, s3
	s_cbranch_execz .LBB28_282
.LBB28_381:
	v_and_b32_e32 v1, 1, v1
	v_and_b32_e32 v13, 1, v15
	s_delay_alu instid0(VALU_DEP_2) | instskip(NEXT) | instid1(VALU_DEP_2)
	v_cmp_eq_u32_e64 s3, 1, v1
	v_cmp_eq_u32_e64 s4, 1, v13
                                        ; implicit-def: $vgpr1
	s_and_b32 s4, s3, s4
	s_delay_alu instid0(SALU_CYCLE_1) | instskip(NEXT) | instid1(SALU_CYCLE_1)
	s_xor_b32 s4, s4, -1
	s_and_saveexec_b32 s6, s4
	s_delay_alu instid0(SALU_CYCLE_1)
	s_xor_b32 s4, exec_lo, s6
	s_cbranch_execz .LBB28_385
; %bb.382:
	v_mov_b32_e32 v1, 1
	s_xor_b32 s6, s3, -1
	s_delay_alu instid0(SALU_CYCLE_1)
	s_and_saveexec_b32 s3, s6
; %bb.383:
	v_and_b32_e32 v1, 0xffff, v15
	v_dual_mov_b32 v3, v10 :: v_dual_mov_b32 v2, v10
; %bb.384:
	s_or_b32 exec_lo, exec_lo, s3
                                        ; implicit-def: $vgpr10
.LBB28_385:
	s_and_not1_saveexec_b32 s4, s4
; %bb.386:
	s_delay_alu instid0(VALU_DEP_1) | instskip(NEXT) | instid1(VALU_DEP_1)
	v_cmp_lt_f32_e64 s3, v10, v2
	v_dual_mov_b32 v1, 1 :: v_dual_cndmask_b32 v2, v2, v10, s3
	v_cmp_lt_f32_e64 s3, v3, v10
	s_delay_alu instid0(VALU_DEP_1)
	v_cndmask_b32_e64 v3, v3, v10, s3
; %bb.387:
	s_or_b32 exec_lo, exec_lo, s4
	s_delay_alu instid0(SALU_CYCLE_1)
	s_or_b32 exec_lo, exec_lo, s5
	s_and_saveexec_b32 s4, s2
	s_cbranch_execz .LBB28_283
.LBB28_388:
	v_and_b32_e32 v1, 1, v1
	v_and_b32_e32 v10, 1, v12
	s_delay_alu instid0(VALU_DEP_2) | instskip(NEXT) | instid1(VALU_DEP_2)
	v_cmp_eq_u32_e64 s2, 1, v1
	v_cmp_eq_u32_e64 s3, 1, v10
                                        ; implicit-def: $vgpr1
	s_and_b32 s3, s2, s3
	s_delay_alu instid0(SALU_CYCLE_1) | instskip(NEXT) | instid1(SALU_CYCLE_1)
	s_xor_b32 s3, s3, -1
	s_and_saveexec_b32 s5, s3
	s_delay_alu instid0(SALU_CYCLE_1)
	s_xor_b32 s3, exec_lo, s5
	s_cbranch_execz .LBB28_392
; %bb.389:
	v_mov_b32_e32 v1, 1
	s_xor_b32 s5, s2, -1
	s_delay_alu instid0(SALU_CYCLE_1)
	s_and_saveexec_b32 s2, s5
; %bb.390:
	v_and_b32_e32 v1, 0xffff, v12
	v_dual_mov_b32 v3, v11 :: v_dual_mov_b32 v2, v11
; %bb.391:
	s_or_b32 exec_lo, exec_lo, s2
                                        ; implicit-def: $vgpr11
.LBB28_392:
	s_and_not1_saveexec_b32 s3, s3
; %bb.393:
	s_delay_alu instid0(VALU_DEP_1) | instskip(NEXT) | instid1(VALU_DEP_1)
	v_cmp_lt_f32_e64 s2, v11, v2
	v_dual_mov_b32 v1, 1 :: v_dual_cndmask_b32 v2, v2, v11, s2
	v_cmp_lt_f32_e64 s2, v3, v11
	s_delay_alu instid0(VALU_DEP_1)
	v_cndmask_b32_e64 v3, v3, v11, s2
; %bb.394:
	s_or_b32 exec_lo, exec_lo, s3
	s_delay_alu instid0(SALU_CYCLE_1)
	s_or_b32 exec_lo, exec_lo, s4
	s_and_saveexec_b32 s3, s1
	s_cbranch_execz .LBB28_284
.LBB28_395:
	v_and_b32_e32 v1, 1, v1
	v_and_b32_e32 v10, 1, v7
	s_delay_alu instid0(VALU_DEP_2) | instskip(NEXT) | instid1(VALU_DEP_2)
	v_cmp_eq_u32_e64 s1, 1, v1
	v_cmp_eq_u32_e64 s2, 1, v10
                                        ; implicit-def: $vgpr1
	s_and_b32 s2, s1, s2
	s_delay_alu instid0(SALU_CYCLE_1) | instskip(NEXT) | instid1(SALU_CYCLE_1)
	s_xor_b32 s2, s2, -1
	s_and_saveexec_b32 s4, s2
	s_delay_alu instid0(SALU_CYCLE_1)
	s_xor_b32 s2, exec_lo, s4
	s_cbranch_execz .LBB28_399
; %bb.396:
	v_mov_b32_e32 v1, 1
	s_xor_b32 s4, s1, -1
	s_delay_alu instid0(SALU_CYCLE_1)
	s_and_saveexec_b32 s1, s4
; %bb.397:
	v_and_b32_e32 v1, 0xffff, v7
	v_dual_mov_b32 v3, v5 :: v_dual_mov_b32 v2, v5
; %bb.398:
	s_or_b32 exec_lo, exec_lo, s1
                                        ; implicit-def: $vgpr5
.LBB28_399:
	s_and_not1_saveexec_b32 s2, s2
; %bb.400:
	s_delay_alu instid0(VALU_DEP_1) | instskip(NEXT) | instid1(VALU_DEP_1)
	v_cmp_lt_f32_e64 s1, v5, v2
	v_dual_mov_b32 v1, 1 :: v_dual_cndmask_b32 v2, v2, v5, s1
	v_cmp_lt_f32_e64 s1, v3, v5
	s_delay_alu instid0(VALU_DEP_1)
	v_cndmask_b32_e64 v3, v3, v5, s1
; %bb.401:
	s_or_b32 exec_lo, exec_lo, s2
	s_delay_alu instid0(SALU_CYCLE_1)
	s_or_b32 exec_lo, exec_lo, s3
	s_and_saveexec_b32 s2, s0
	s_cbranch_execz .LBB28_285
.LBB28_402:
	v_and_b32_e32 v1, 1, v1
	v_and_b32_e32 v5, 1, v9
	s_delay_alu instid0(VALU_DEP_2) | instskip(NEXT) | instid1(VALU_DEP_2)
	v_cmp_eq_u32_e64 s0, 1, v1
	v_cmp_eq_u32_e64 s1, 1, v5
                                        ; implicit-def: $vgpr1
	s_and_b32 s1, s0, s1
	s_delay_alu instid0(SALU_CYCLE_1) | instskip(NEXT) | instid1(SALU_CYCLE_1)
	s_xor_b32 s1, s1, -1
	s_and_saveexec_b32 s3, s1
	s_delay_alu instid0(SALU_CYCLE_1)
	s_xor_b32 s1, exec_lo, s3
	s_cbranch_execz .LBB28_406
; %bb.403:
	v_mov_b32_e32 v1, 1
	s_xor_b32 s3, s0, -1
	s_delay_alu instid0(SALU_CYCLE_1)
	s_and_saveexec_b32 s0, s3
; %bb.404:
	v_mov_b32_e32 v7, v6
	v_and_b32_e32 v1, 0xffff, v9
	s_delay_alu instid0(VALU_DEP_2)
	v_mov_b64_e32 v[2:3], v[6:7]
; %bb.405:
	s_or_b32 exec_lo, exec_lo, s0
                                        ; implicit-def: $vgpr6
.LBB28_406:
	s_and_not1_saveexec_b32 s1, s1
; %bb.407:
	s_delay_alu instid0(VALU_DEP_1) | instskip(NEXT) | instid1(VALU_DEP_1)
	v_cmp_lt_f32_e64 s0, v6, v2
	v_dual_mov_b32 v1, 1 :: v_dual_cndmask_b32 v2, v2, v6, s0
	s_delay_alu instid0(VALU_DEP_3) | instskip(NEXT) | instid1(VALU_DEP_1)
	v_cmp_lt_f32_e64 s0, v3, v6
	v_cndmask_b32_e64 v3, v3, v6, s0
; %bb.408:
	s_or_b32 exec_lo, exec_lo, s1
	s_delay_alu instid0(SALU_CYCLE_1)
	s_or_b32 exec_lo, exec_lo, s2
	s_and_saveexec_b32 s1, vcc_lo
	s_cbranch_execz .LBB28_416
.LBB28_409:
	v_and_b32_e32 v1, 1, v1
	v_and_b32_e32 v5, 1, v8
	s_delay_alu instid0(VALU_DEP_2) | instskip(NEXT) | instid1(VALU_DEP_2)
	v_cmp_eq_u32_e32 vcc_lo, 1, v1
	v_cmp_eq_u32_e64 s0, 1, v5
                                        ; implicit-def: $vgpr1
	s_and_b32 s0, vcc_lo, s0
	s_delay_alu instid0(SALU_CYCLE_1) | instskip(NEXT) | instid1(SALU_CYCLE_1)
	s_xor_b32 s0, s0, -1
	s_and_saveexec_b32 s2, s0
	s_delay_alu instid0(SALU_CYCLE_1)
	s_xor_b32 s0, exec_lo, s2
	s_cbranch_execz .LBB28_413
; %bb.410:
	v_mov_b32_e32 v1, 1
	s_xor_b32 s3, vcc_lo, -1
	s_delay_alu instid0(SALU_CYCLE_1)
	s_and_saveexec_b32 s2, s3
	s_cbranch_execz .LBB28_412
; %bb.411:
	s_wait_loadcnt 0x0
	v_mov_b32_e32 v5, v4
	v_and_b32_e32 v1, 0xffff, v8
	s_delay_alu instid0(VALU_DEP_2)
	v_mov_b64_e32 v[2:3], v[4:5]
.LBB28_412:
	s_or_b32 exec_lo, exec_lo, s2
                                        ; implicit-def: $vgpr4
.LBB28_413:
	s_and_not1_saveexec_b32 s0, s0
	s_cbranch_execz .LBB28_415
; %bb.414:
	s_wait_loadcnt 0x0
	s_delay_alu instid0(VALU_DEP_1)
	v_cmp_lt_f32_e32 vcc_lo, v3, v4
	v_dual_mov_b32 v1, 1 :: v_dual_cndmask_b32 v3, v3, v4, vcc_lo
	v_cmp_lt_f32_e32 vcc_lo, v4, v2
	v_cndmask_b32_e32 v2, v2, v4, vcc_lo
.LBB28_415:
	s_or_b32 exec_lo, exec_lo, s0
.LBB28_416:
	s_delay_alu instid0(SALU_CYCLE_1) | instskip(SKIP_4) | instid1(VALU_DEP_3)
	s_or_b32 exec_lo, exec_lo, s1
	v_mbcnt_lo_u32_b32 v6, -1, 0
	v_and_b32_e32 v7, 0x60, v0
	s_min_u32 s0, s34, 0x80
	v_mov_b32_e32 v10, v3
	v_cmp_ne_u32_e32 vcc_lo, 31, v6
	v_add_nc_u32_e32 v9, 1, v6
	v_sub_nc_u32_e64 v7, s0, v7 clamp
	s_wait_loadcnt 0x0
	v_add_co_ci_u32_e64 v4, null, 0, v6, vcc_lo
	s_delay_alu instid0(VALU_DEP_2) | instskip(NEXT) | instid1(VALU_DEP_2)
	v_cmp_lt_u32_e32 vcc_lo, v9, v7
	v_dual_mov_b32 v9, v2 :: v_dual_lshlrev_b32 v5, 2, v4
	ds_bpermute_b32 v8, v5, v1
	ds_bpermute_b32 v4, v5, v2
	;; [unrolled: 1-line block ×3, first 2 shown]
	s_and_saveexec_b32 s1, vcc_lo
	s_delay_alu instid0(SALU_CYCLE_1)
	s_xor_b32 s1, exec_lo, s1
	s_cbranch_execz .LBB28_424
; %bb.417:
	s_wait_dscnt 0x2
	v_and_b32_e32 v9, v8, v1
	s_mov_b32 s2, exec_lo
	s_delay_alu instid0(VALU_DEP_1)
	v_cmpx_ne_u32_e32 0, v9
	s_xor_b32 s2, exec_lo, s2
	s_cbranch_execz .LBB28_419
; %bb.418:
	s_wait_dscnt 0x0
	v_cmp_lt_f32_e32 vcc_lo, v3, v5
                                        ; implicit-def: $vgpr8
                                        ; implicit-def: $vgpr1
	v_cndmask_b32_e32 v5, v3, v5, vcc_lo
	v_cmp_lt_f32_e32 vcc_lo, v4, v2
	v_cndmask_b32_e32 v4, v2, v4, vcc_lo
                                        ; implicit-def: $vgpr2_vgpr3
.LBB28_419:
	s_or_saveexec_b32 s2, s2
	v_mov_b32_e32 v9, 1
	s_xor_b32 exec_lo, exec_lo, s2
	s_cbranch_execz .LBB28_423
; %bb.420:
	v_and_b32_e32 v1, 1, v1
	s_mov_b32 s3, exec_lo
	s_delay_alu instid0(VALU_DEP_1)
	v_cmpx_eq_u32_e32 1, v1
	s_cbranch_execz .LBB28_422
; %bb.421:
	s_wait_dscnt 0x0
	v_mov_b64_e32 v[4:5], v[2:3]
	v_mov_b32_e32 v8, 1
.LBB28_422:
	s_or_b32 exec_lo, exec_lo, s3
	s_delay_alu instid0(VALU_DEP_1)
	v_mov_b32_e32 v9, v8
.LBB28_423:
	s_or_b32 exec_lo, exec_lo, s2
	s_wait_dscnt 0x0
	s_delay_alu instid0(VALU_DEP_3) | instskip(NEXT) | instid1(VALU_DEP_2)
	v_mov_b64_e32 v[2:3], v[4:5]
	v_and_b32_e32 v1, 0xff, v9
	v_dual_mov_b32 v9, v4 :: v_dual_mov_b32 v10, v5
.LBB28_424:
	s_or_b32 exec_lo, exec_lo, s1
	v_cmp_gt_u32_e32 vcc_lo, 30, v6
	v_add_nc_u32_e32 v11, 2, v6
	s_mov_b32 s1, exec_lo
	s_wait_dscnt 0x1
	v_cndmask_b32_e64 v4, 0, 2, vcc_lo
	s_wait_dscnt 0x0
	s_delay_alu instid0(VALU_DEP_1)
	v_add_lshl_u32 v5, v4, v6, 2
	ds_bpermute_b32 v8, v5, v1
	ds_bpermute_b32 v4, v5, v9
	;; [unrolled: 1-line block ×3, first 2 shown]
	v_cmpx_lt_u32_e64 v11, v7
	s_cbranch_execz .LBB28_432
; %bb.425:
	s_wait_dscnt 0x2
	v_and_b32_e32 v9, v1, v8
	s_mov_b32 s2, exec_lo
	s_delay_alu instid0(VALU_DEP_1) | instskip(NEXT) | instid1(VALU_DEP_1)
	v_and_b32_e32 v9, 1, v9
	v_cmpx_eq_u32_e32 1, v9
	s_xor_b32 s2, exec_lo, s2
	s_cbranch_execz .LBB28_427
; %bb.426:
	s_wait_dscnt 0x0
	v_cmp_lt_f32_e32 vcc_lo, v3, v5
                                        ; implicit-def: $vgpr8
                                        ; implicit-def: $vgpr1
	v_cndmask_b32_e32 v5, v3, v5, vcc_lo
	v_cmp_lt_f32_e32 vcc_lo, v4, v2
	v_cndmask_b32_e32 v4, v2, v4, vcc_lo
                                        ; implicit-def: $vgpr2_vgpr3
.LBB28_427:
	s_or_saveexec_b32 s2, s2
	v_mov_b32_e32 v9, 1
	s_xor_b32 exec_lo, exec_lo, s2
	s_cbranch_execz .LBB28_431
; %bb.428:
	v_and_b32_e32 v1, 1, v1
	s_mov_b32 s3, exec_lo
	s_delay_alu instid0(VALU_DEP_1)
	v_cmpx_eq_u32_e32 1, v1
	s_cbranch_execz .LBB28_430
; %bb.429:
	s_wait_dscnt 0x0
	v_mov_b64_e32 v[4:5], v[2:3]
	v_mov_b32_e32 v8, 1
.LBB28_430:
	s_or_b32 exec_lo, exec_lo, s3
	s_delay_alu instid0(VALU_DEP_1)
	v_mov_b32_e32 v9, v8
.LBB28_431:
	s_or_b32 exec_lo, exec_lo, s2
	s_wait_dscnt 0x0
	s_delay_alu instid0(VALU_DEP_3) | instskip(NEXT) | instid1(VALU_DEP_2)
	v_mov_b64_e32 v[2:3], v[4:5]
	v_and_b32_e32 v1, 0xff, v9
	v_dual_mov_b32 v9, v4 :: v_dual_mov_b32 v10, v5
.LBB28_432:
	s_or_b32 exec_lo, exec_lo, s1
	v_cmp_gt_u32_e32 vcc_lo, 28, v6
	v_add_nc_u32_e32 v11, 4, v6
	s_mov_b32 s1, exec_lo
	s_wait_dscnt 0x1
	v_cndmask_b32_e64 v4, 0, 4, vcc_lo
	s_wait_dscnt 0x0
	s_delay_alu instid0(VALU_DEP_1)
	v_add_lshl_u32 v5, v4, v6, 2
	ds_bpermute_b32 v8, v5, v1
	ds_bpermute_b32 v4, v5, v9
	;; [unrolled: 1-line block ×3, first 2 shown]
	v_cmpx_lt_u32_e64 v11, v7
	s_cbranch_execz .LBB28_440
; %bb.433:
	s_wait_dscnt 0x2
	v_and_b32_e32 v9, v1, v8
	s_mov_b32 s2, exec_lo
	s_delay_alu instid0(VALU_DEP_1) | instskip(NEXT) | instid1(VALU_DEP_1)
	v_and_b32_e32 v9, 1, v9
	v_cmpx_eq_u32_e32 1, v9
	s_xor_b32 s2, exec_lo, s2
	s_cbranch_execz .LBB28_435
; %bb.434:
	s_wait_dscnt 0x1
	v_cmp_gt_f32_e32 vcc_lo, v2, v4
                                        ; implicit-def: $vgpr8
                                        ; implicit-def: $vgpr1
	v_cndmask_b32_e32 v4, v2, v4, vcc_lo
	s_wait_dscnt 0x0
	v_cmp_lt_f32_e32 vcc_lo, v3, v5
	v_cndmask_b32_e32 v5, v3, v5, vcc_lo
                                        ; implicit-def: $vgpr2_vgpr3
.LBB28_435:
	s_or_saveexec_b32 s2, s2
	v_mov_b32_e32 v9, 1
	s_xor_b32 exec_lo, exec_lo, s2
	s_cbranch_execz .LBB28_439
; %bb.436:
	v_and_b32_e32 v1, 1, v1
	s_mov_b32 s3, exec_lo
	s_delay_alu instid0(VALU_DEP_1)
	v_cmpx_eq_u32_e32 1, v1
	s_cbranch_execz .LBB28_438
; %bb.437:
	s_wait_dscnt 0x0
	v_mov_b64_e32 v[4:5], v[2:3]
	v_mov_b32_e32 v8, 1
.LBB28_438:
	s_or_b32 exec_lo, exec_lo, s3
	s_delay_alu instid0(VALU_DEP_1)
	v_mov_b32_e32 v9, v8
.LBB28_439:
	s_or_b32 exec_lo, exec_lo, s2
	s_wait_dscnt 0x0
	s_delay_alu instid0(VALU_DEP_3) | instskip(NEXT) | instid1(VALU_DEP_2)
	v_mov_b64_e32 v[2:3], v[4:5]
	v_and_b32_e32 v1, 0xff, v9
	v_dual_mov_b32 v9, v4 :: v_dual_mov_b32 v10, v5
.LBB28_440:
	s_or_b32 exec_lo, exec_lo, s1
	v_cmp_gt_u32_e32 vcc_lo, 24, v6
	v_add_nc_u32_e32 v11, 8, v6
	s_mov_b32 s1, exec_lo
	s_wait_dscnt 0x1
	v_cndmask_b32_e64 v4, 0, 8, vcc_lo
	s_wait_dscnt 0x0
	s_delay_alu instid0(VALU_DEP_1)
	v_add_lshl_u32 v5, v4, v6, 2
	ds_bpermute_b32 v8, v5, v1
	ds_bpermute_b32 v4, v5, v9
	;; [unrolled: 1-line block ×3, first 2 shown]
	v_cmpx_lt_u32_e64 v11, v7
	s_cbranch_execz .LBB28_448
; %bb.441:
	s_wait_dscnt 0x2
	v_and_b32_e32 v9, v1, v8
	s_mov_b32 s2, exec_lo
	s_delay_alu instid0(VALU_DEP_1) | instskip(NEXT) | instid1(VALU_DEP_1)
	v_and_b32_e32 v9, 1, v9
	v_cmpx_eq_u32_e32 1, v9
	s_xor_b32 s2, exec_lo, s2
	s_cbranch_execz .LBB28_443
; %bb.442:
	s_wait_dscnt 0x0
	v_cmp_gt_f32_e32 vcc_lo, v5, v3
                                        ; implicit-def: $vgpr8
                                        ; implicit-def: $vgpr1
	v_cndmask_b32_e32 v5, v3, v5, vcc_lo
	v_cmp_gt_f32_e32 vcc_lo, v2, v4
	v_cndmask_b32_e32 v4, v2, v4, vcc_lo
                                        ; implicit-def: $vgpr2_vgpr3
.LBB28_443:
	s_or_saveexec_b32 s2, s2
	v_mov_b32_e32 v9, 1
	s_xor_b32 exec_lo, exec_lo, s2
	s_cbranch_execz .LBB28_447
; %bb.444:
	v_and_b32_e32 v1, 1, v1
	s_mov_b32 s3, exec_lo
	s_delay_alu instid0(VALU_DEP_1)
	v_cmpx_eq_u32_e32 1, v1
	s_cbranch_execz .LBB28_446
; %bb.445:
	s_wait_dscnt 0x0
	v_mov_b64_e32 v[4:5], v[2:3]
	v_mov_b32_e32 v8, 1
.LBB28_446:
	s_or_b32 exec_lo, exec_lo, s3
	s_delay_alu instid0(VALU_DEP_1)
	v_mov_b32_e32 v9, v8
.LBB28_447:
	s_or_b32 exec_lo, exec_lo, s2
	s_wait_dscnt 0x0
	s_delay_alu instid0(VALU_DEP_3) | instskip(NEXT) | instid1(VALU_DEP_2)
	v_mov_b64_e32 v[2:3], v[4:5]
	v_and_b32_e32 v1, 0xff, v9
	v_dual_mov_b32 v9, v4 :: v_dual_mov_b32 v10, v5
.LBB28_448:
	s_or_b32 exec_lo, exec_lo, s1
	s_wait_dscnt 0x2
	v_lshlrev_b32_e32 v8, 2, v6
	s_wait_dscnt 0x0
	s_delay_alu instid0(VALU_DEP_1) | instskip(SKIP_2) | instid1(VALU_DEP_1)
	v_or_b32_e32 v5, 64, v8
	ds_bpermute_b32 v4, v5, v9
	v_add_nc_u32_e32 v9, 16, v6
	v_cmp_lt_u32_e32 vcc_lo, v9, v7
	v_mov_b32_e32 v7, v1
	ds_bpermute_b32 v11, v5, v1
	ds_bpermute_b32 v5, v5, v10
	s_and_saveexec_b32 s1, vcc_lo
	s_cbranch_execz .LBB28_456
; %bb.449:
	s_wait_dscnt 0x1
	v_and_b32_e32 v7, v1, v11
	s_mov_b32 s2, exec_lo
	s_delay_alu instid0(VALU_DEP_1) | instskip(NEXT) | instid1(VALU_DEP_1)
	v_and_b32_e32 v7, 1, v7
	v_cmpx_eq_u32_e32 1, v7
	s_xor_b32 s2, exec_lo, s2
	s_cbranch_execz .LBB28_451
; %bb.450:
	s_wait_dscnt 0x0
	v_cmp_gt_f32_e32 vcc_lo, v5, v3
                                        ; implicit-def: $vgpr11
                                        ; implicit-def: $vgpr1
	v_cndmask_b32_e32 v5, v3, v5, vcc_lo
	v_cmp_gt_f32_e32 vcc_lo, v2, v4
	v_cndmask_b32_e32 v4, v2, v4, vcc_lo
                                        ; implicit-def: $vgpr2_vgpr3
.LBB28_451:
	s_or_saveexec_b32 s2, s2
	v_mov_b32_e32 v7, 1
	s_xor_b32 exec_lo, exec_lo, s2
	s_cbranch_execz .LBB28_455
; %bb.452:
	v_and_b32_e32 v1, 1, v1
	s_mov_b32 s3, exec_lo
	s_delay_alu instid0(VALU_DEP_1)
	v_cmpx_eq_u32_e32 1, v1
	s_cbranch_execz .LBB28_454
; %bb.453:
	s_wait_dscnt 0x0
	v_mov_b64_e32 v[4:5], v[2:3]
	v_mov_b32_e32 v11, 1
.LBB28_454:
	s_or_b32 exec_lo, exec_lo, s3
	s_delay_alu instid0(VALU_DEP_1)
	v_mov_b32_e32 v7, v11
.LBB28_455:
	s_or_b32 exec_lo, exec_lo, s2
	s_wait_dscnt 0x0
	s_delay_alu instid0(VALU_DEP_3) | instskip(NEXT) | instid1(VALU_DEP_2)
	v_mov_b64_e32 v[2:3], v[4:5]
	v_and_b32_e32 v1, 0xff, v7
.LBB28_456:
	s_or_b32 exec_lo, exec_lo, s1
	s_delay_alu instid0(SALU_CYCLE_1)
	s_mov_b32 s1, exec_lo
	v_cmpx_eq_u32_e32 0, v6
	s_cbranch_execz .LBB28_458
; %bb.457:
	s_wait_dscnt 0x2
	v_lshrrev_b32_e32 v4, 5, v0
	s_delay_alu instid0(VALU_DEP_1)
	v_mul_u32_u24_e32 v4, 12, v4
	ds_store_b8 v4, v7
	ds_store_2addr_b32 v4, v2, v3 offset0:1 offset1:2
.LBB28_458:
	s_or_b32 exec_lo, exec_lo, s1
	s_delay_alu instid0(SALU_CYCLE_1)
	s_mov_b32 s1, exec_lo
	s_wait_dscnt 0x0
	s_barrier_signal -1
	s_barrier_wait -1
	v_cmpx_gt_u32_e32 4, v0
	s_cbranch_execz .LBB28_476
; %bb.459:
	v_mul_u32_u24_e32 v1, 12, v6
	v_and_b32_e32 v7, 3, v6
	s_add_co_i32 s0, s0, 31
	ds_load_u8 v9, v1
	ds_load_2addr_b32 v[2:3], v1 offset0:1 offset1:2
	v_cmp_ne_u32_e32 vcc_lo, 3, v7
	s_lshr_b32 s0, s0, 5
	v_add_co_ci_u32_e64 v1, null, 0, v6, vcc_lo
	s_delay_alu instid0(VALU_DEP_1)
	v_dual_lshlrev_b32 v5, 2, v1 :: v_dual_add_nc_u32 v10, 1, v7
	s_wait_dscnt 0x1
	v_and_b32_e32 v1, 0xff, v9
	s_wait_dscnt 0x0
	ds_bpermute_b32 v4, v5, v2
	v_mov_b32_e32 v11, v3
	v_cmp_gt_u32_e32 vcc_lo, s0, v10
	v_mov_b32_e32 v10, v2
	ds_bpermute_b32 v6, v5, v1
	ds_bpermute_b32 v5, v5, v3
	s_and_saveexec_b32 s2, vcc_lo
	s_cbranch_execz .LBB28_467
; %bb.460:
	s_wait_dscnt 0x1
	v_and_b32_e32 v1, v1, v6
	s_mov_b32 s3, exec_lo
	s_delay_alu instid0(VALU_DEP_1) | instskip(NEXT) | instid1(VALU_DEP_1)
	v_and_b32_e32 v1, 1, v1
	v_cmpx_eq_u32_e32 1, v1
	s_xor_b32 s3, exec_lo, s3
	s_cbranch_execz .LBB28_462
; %bb.461:
	s_wait_dscnt 0x0
	v_cmp_gt_f32_e32 vcc_lo, v5, v3
                                        ; implicit-def: $vgpr6
                                        ; implicit-def: $vgpr9
	v_cndmask_b32_e32 v5, v3, v5, vcc_lo
	v_cmp_gt_f32_e32 vcc_lo, v2, v4
	v_cndmask_b32_e32 v4, v2, v4, vcc_lo
                                        ; implicit-def: $vgpr2_vgpr3
.LBB28_462:
	s_or_saveexec_b32 s3, s3
	v_mov_b32_e32 v1, 1
	s_xor_b32 exec_lo, exec_lo, s3
	s_cbranch_execz .LBB28_466
; %bb.463:
	v_and_b32_e32 v1, 1, v9
	s_mov_b32 s4, exec_lo
	s_delay_alu instid0(VALU_DEP_1)
	v_cmpx_eq_u32_e32 1, v1
	s_cbranch_execz .LBB28_465
; %bb.464:
	s_wait_dscnt 0x0
	v_mov_b64_e32 v[4:5], v[2:3]
	v_mov_b32_e32 v6, 1
.LBB28_465:
	s_or_b32 exec_lo, exec_lo, s4
	s_delay_alu instid0(VALU_DEP_1)
	v_mov_b32_e32 v1, v6
.LBB28_466:
	s_or_b32 exec_lo, exec_lo, s3
	s_wait_dscnt 0x0
	s_delay_alu instid0(VALU_DEP_3) | instskip(NEXT) | instid1(VALU_DEP_2)
	v_mov_b64_e32 v[2:3], v[4:5]
	v_and_b32_e32 v1, 0xff, v1
	v_dual_mov_b32 v10, v4 :: v_dual_mov_b32 v11, v5
.LBB28_467:
	s_or_b32 exec_lo, exec_lo, s2
	s_wait_dscnt 0x0
	v_dual_add_nc_u32 v7, 2, v7 :: v_dual_bitop2_b32 v5, 8, v8 bitop3:0x54
	ds_bpermute_b32 v6, v5, v1
	ds_bpermute_b32 v4, v5, v10
	;; [unrolled: 1-line block ×3, first 2 shown]
	v_cmp_gt_u32_e32 vcc_lo, s0, v7
	s_and_saveexec_b32 s0, vcc_lo
	s_cbranch_execz .LBB28_475
; %bb.468:
	s_wait_dscnt 0x2
	v_and_b32_e32 v7, v1, v6
	s_mov_b32 s2, exec_lo
	s_delay_alu instid0(VALU_DEP_1) | instskip(NEXT) | instid1(VALU_DEP_1)
	v_and_b32_e32 v7, 1, v7
	v_cmpx_eq_u32_e32 1, v7
	s_xor_b32 s2, exec_lo, s2
	s_cbranch_execz .LBB28_470
; %bb.469:
	s_wait_dscnt 0x0
	v_cmp_gt_f32_e32 vcc_lo, v5, v3
                                        ; implicit-def: $vgpr6
                                        ; implicit-def: $vgpr1
	v_cndmask_b32_e32 v5, v3, v5, vcc_lo
	v_cmp_gt_f32_e32 vcc_lo, v2, v4
	v_cndmask_b32_e32 v4, v2, v4, vcc_lo
                                        ; implicit-def: $vgpr2_vgpr3
.LBB28_470:
	s_or_saveexec_b32 s2, s2
	v_mov_b32_e32 v7, 1
	s_xor_b32 exec_lo, exec_lo, s2
	s_cbranch_execz .LBB28_474
; %bb.471:
	v_and_b32_e32 v1, 1, v1
	s_mov_b32 s3, exec_lo
	s_delay_alu instid0(VALU_DEP_1)
	v_cmpx_eq_u32_e32 1, v1
	s_cbranch_execz .LBB28_473
; %bb.472:
	s_wait_dscnt 0x0
	v_mov_b64_e32 v[4:5], v[2:3]
	v_mov_b32_e32 v6, 1
.LBB28_473:
	s_or_b32 exec_lo, exec_lo, s3
	s_delay_alu instid0(VALU_DEP_1)
	v_mov_b32_e32 v7, v6
.LBB28_474:
	s_or_b32 exec_lo, exec_lo, s2
	s_wait_dscnt 0x0
	s_delay_alu instid0(VALU_DEP_3) | instskip(NEXT) | instid1(VALU_DEP_2)
	v_mov_b64_e32 v[2:3], v[4:5]
	v_mov_b32_e32 v1, v7
.LBB28_475:
	s_or_b32 exec_lo, exec_lo, s0
.LBB28_476:
	s_delay_alu instid0(SALU_CYCLE_1)
	s_or_b32 exec_lo, exec_lo, s1
.LBB28_477:
	s_mov_b32 s8, 0
	s_mov_b32 s0, exec_lo
                                        ; implicit-def: $vgpr4_vgpr5
                                        ; implicit-def: $vgpr6
	v_cmpx_eq_u32_e32 0, v0
	s_xor_b32 s0, exec_lo, s0
	s_cbranch_execz .LBB28_485
; %bb.478:
	s_wait_dscnt 0x0
	v_mov_b64_e32 v[4:5], s[24:25]
	v_mov_b32_e32 v6, s30
	s_cmp_eq_u64 s[20:21], 0
	s_cbranch_scc1 .LBB28_484
; %bb.479:
	v_and_b32_e32 v4, 1, v1
	s_bitcmp1_b32 s30, 0
                                        ; implicit-def: $vgpr6
	s_cselect_b32 s2, -1, 0
	s_delay_alu instid0(VALU_DEP_1) | instskip(SKIP_1) | instid1(SALU_CYCLE_1)
	v_cmp_eq_u32_e32 vcc_lo, 1, v4
                                        ; implicit-def: $vgpr4_vgpr5
	s_and_b32 s1, s2, vcc_lo
	s_xor_b32 s1, s1, -1
	s_delay_alu instid0(SALU_CYCLE_1) | instskip(NEXT) | instid1(SALU_CYCLE_1)
	s_and_saveexec_b32 s3, s1
	s_xor_b32 s1, exec_lo, s3
; %bb.480:
	v_cndmask_b32_e64 v6, v1, 1, s2
	v_cndmask_b32_e64 v5, v3, s25, s2
	;; [unrolled: 1-line block ×3, first 2 shown]
                                        ; implicit-def: $vgpr2_vgpr3
; %bb.481:
	s_and_not1_saveexec_b32 s1, s1
; %bb.482:
	v_cmp_lt_f32_e32 vcc_lo, s25, v3
	v_dual_mov_b32 v6, 1 :: v_dual_cndmask_b32 v5, s25, v3
	v_cmp_gt_f32_e32 vcc_lo, s24, v2
	v_cndmask_b32_e32 v4, s24, v2, vcc_lo
; %bb.483:
	s_or_b32 exec_lo, exec_lo, s1
.LBB28_484:
	s_delay_alu instid0(SALU_CYCLE_1)
	s_mov_b32 s8, exec_lo
.LBB28_485:
	s_or_b32 exec_lo, exec_lo, s0
	s_delay_alu instid0(SALU_CYCLE_1)
	s_and_b32 vcc_lo, exec_lo, s31
	s_cbranch_vccnz .LBB28_146
.LBB28_486:
	s_branch .LBB28_675
.LBB28_487:
	global_load_b32 v4, v0, s[6:7] offset:3584 scale_offset
	s_wait_xcnt 0x0
	s_abs_i32 s7, s19
	v_add_nc_u32_e32 v3, s9, v3
	s_cvt_f32_u32 s6, s7
	s_sub_co_i32 s9, 0, s7
	s_delay_alu instid0(SALU_CYCLE_2) | instskip(SKIP_1) | instid1(TRANS32_DEP_1)
	v_rcp_iflag_f32_e32 v8, s6
	v_nop
	v_readfirstlane_b32 s6, v8
	v_sub_nc_u32_e32 v8, 0, v3
	s_mul_f32 s6, s6, 0x4f7ffffe
	s_delay_alu instid0(VALU_DEP_1) | instskip(NEXT) | instid1(SALU_CYCLE_2)
	v_max_i32_e32 v8, v3, v8
	s_cvt_u32_f32 s6, s6
	s_delay_alu instid0(SALU_CYCLE_3) | instskip(NEXT) | instid1(SALU_CYCLE_1)
	s_mul_i32 s9, s9, s6
	s_mul_hi_u32 s9, s6, s9
	s_delay_alu instid0(SALU_CYCLE_1) | instskip(NEXT) | instid1(SALU_CYCLE_1)
	s_add_co_i32 s6, s6, s9
	v_mul_hi_u32 v18, v8, s6
	s_delay_alu instid0(VALU_DEP_1) | instskip(NEXT) | instid1(VALU_DEP_1)
	v_mul_lo_u32 v18, v18, s7
	v_dual_sub_nc_u32 v8, v8, v18 :: v_dual_ashrrev_i32 v3, 31, v3
	s_delay_alu instid0(VALU_DEP_1) | instskip(SKIP_1) | instid1(VALU_DEP_1)
	v_subrev_nc_u32_e32 v18, s7, v8
	v_cmp_le_u32_e64 s6, s7, v8
	v_cndmask_b32_e64 v8, v8, v18, s6
	s_delay_alu instid0(VALU_DEP_1) | instskip(SKIP_1) | instid1(VALU_DEP_1)
	v_subrev_nc_u32_e32 v18, s7, v8
	v_cmp_le_u32_e64 s6, s7, v8
	v_cndmask_b32_e64 v8, v8, v18, s6
	s_delay_alu instid0(VALU_DEP_1) | instskip(NEXT) | instid1(VALU_DEP_1)
	v_xor_b32_e32 v8, v8, v3
	v_sub_nc_u32_e32 v3, v8, v3
	s_delay_alu instid0(VALU_DEP_1) | instskip(NEXT) | instid1(VALU_DEP_1)
	v_cmp_gt_i32_e64 s6, s18, v3
	v_cndmask_b32_e64 v8, 0, 1, s6
	s_or_b32 exec_lo, exec_lo, s11
	s_wait_loadcnt 0x1
	v_mov_b32_e32 v3, v2
	s_and_saveexec_b32 s7, s5
	s_cbranch_execz .LBB28_304
.LBB28_488:
	v_and_b32_e32 v1, 1, v1
	v_and_b32_e32 v3, 1, v17
	s_delay_alu instid0(VALU_DEP_2) | instskip(NEXT) | instid1(VALU_DEP_2)
	v_cmp_eq_u32_e64 s5, 1, v1
	v_cmp_eq_u32_e64 s6, 1, v3
                                        ; implicit-def: $vgpr1
	s_and_b32 s6, s5, s6
	s_delay_alu instid0(SALU_CYCLE_1) | instskip(NEXT) | instid1(SALU_CYCLE_1)
	s_xor_b32 s6, s6, -1
	s_and_saveexec_b32 s9, s6
	s_delay_alu instid0(SALU_CYCLE_1)
	s_xor_b32 s6, exec_lo, s9
	s_cbranch_execz .LBB28_492
; %bb.489:
	v_mov_b32_e32 v1, 1
	s_xor_b32 s9, s5, -1
	s_delay_alu instid0(SALU_CYCLE_1)
	s_and_saveexec_b32 s5, s9
; %bb.490:
	v_and_b32_e32 v1, 0xffff, v17
	v_mov_b32_e32 v2, v13
; %bb.491:
	s_or_b32 exec_lo, exec_lo, s5
                                        ; implicit-def: $vgpr13
.LBB28_492:
	s_or_saveexec_b32 s6, s6
	s_delay_alu instid0(VALU_DEP_1)
	v_mov_b32_e32 v17, v2
	s_xor_b32 exec_lo, exec_lo, s6
; %bb.493:
	v_cmp_lt_f32_e64 s5, v13, v2
	s_delay_alu instid0(VALU_DEP_1) | instskip(SKIP_1) | instid1(VALU_DEP_1)
	v_dual_mov_b32 v1, 1 :: v_dual_cndmask_b32 v17, v2, v13, s5
	v_cmp_lt_f32_e64 s5, v2, v13
	v_cndmask_b32_e64 v2, v2, v13, s5
; %bb.494:
	s_or_b32 exec_lo, exec_lo, s6
	s_delay_alu instid0(VALU_DEP_1)
	v_dual_mov_b32 v3, v2 :: v_dual_mov_b32 v2, v17
	s_or_b32 exec_lo, exec_lo, s7
	s_and_saveexec_b32 s6, s4
	s_cbranch_execz .LBB28_305
.LBB28_495:
	v_and_b32_e32 v1, 1, v1
	v_and_b32_e32 v13, 1, v16
	s_delay_alu instid0(VALU_DEP_2) | instskip(NEXT) | instid1(VALU_DEP_2)
	v_cmp_eq_u32_e64 s4, 1, v1
	v_cmp_eq_u32_e64 s5, 1, v13
                                        ; implicit-def: $vgpr1
	s_and_b32 s5, s4, s5
	s_delay_alu instid0(SALU_CYCLE_1) | instskip(NEXT) | instid1(SALU_CYCLE_1)
	s_xor_b32 s5, s5, -1
	s_and_saveexec_b32 s7, s5
	s_delay_alu instid0(SALU_CYCLE_1)
	s_xor_b32 s5, exec_lo, s7
	s_cbranch_execz .LBB28_499
; %bb.496:
	v_mov_b32_e32 v1, 1
	s_xor_b32 s7, s4, -1
	s_delay_alu instid0(SALU_CYCLE_1)
	s_and_saveexec_b32 s4, s7
; %bb.497:
	v_and_b32_e32 v1, 0xffff, v16
	v_dual_mov_b32 v3, v14 :: v_dual_mov_b32 v2, v14
; %bb.498:
	s_or_b32 exec_lo, exec_lo, s4
                                        ; implicit-def: $vgpr14
.LBB28_499:
	s_and_not1_saveexec_b32 s5, s5
; %bb.500:
	s_delay_alu instid0(VALU_DEP_1) | instskip(NEXT) | instid1(VALU_DEP_1)
	v_cmp_lt_f32_e64 s4, v14, v2
	v_dual_mov_b32 v1, 1 :: v_dual_cndmask_b32 v2, v2, v14, s4
	v_cmp_lt_f32_e64 s4, v3, v14
	s_delay_alu instid0(VALU_DEP_1)
	v_cndmask_b32_e64 v3, v3, v14, s4
; %bb.501:
	s_or_b32 exec_lo, exec_lo, s5
	s_delay_alu instid0(SALU_CYCLE_1)
	s_or_b32 exec_lo, exec_lo, s6
	s_and_saveexec_b32 s5, s3
	s_cbranch_execz .LBB28_306
.LBB28_502:
	v_and_b32_e32 v1, 1, v1
	v_and_b32_e32 v13, 1, v15
	s_delay_alu instid0(VALU_DEP_2) | instskip(NEXT) | instid1(VALU_DEP_2)
	v_cmp_eq_u32_e64 s3, 1, v1
	v_cmp_eq_u32_e64 s4, 1, v13
                                        ; implicit-def: $vgpr1
	s_and_b32 s4, s3, s4
	s_delay_alu instid0(SALU_CYCLE_1) | instskip(NEXT) | instid1(SALU_CYCLE_1)
	s_xor_b32 s4, s4, -1
	s_and_saveexec_b32 s6, s4
	s_delay_alu instid0(SALU_CYCLE_1)
	s_xor_b32 s4, exec_lo, s6
	s_cbranch_execz .LBB28_506
; %bb.503:
	v_mov_b32_e32 v1, 1
	s_xor_b32 s6, s3, -1
	s_delay_alu instid0(SALU_CYCLE_1)
	s_and_saveexec_b32 s3, s6
; %bb.504:
	v_and_b32_e32 v1, 0xffff, v15
	v_dual_mov_b32 v3, v7 :: v_dual_mov_b32 v2, v7
; %bb.505:
	s_or_b32 exec_lo, exec_lo, s3
                                        ; implicit-def: $vgpr7
.LBB28_506:
	s_and_not1_saveexec_b32 s4, s4
; %bb.507:
	s_delay_alu instid0(VALU_DEP_1) | instskip(NEXT) | instid1(VALU_DEP_1)
	v_cmp_lt_f32_e64 s3, v7, v2
	v_dual_mov_b32 v1, 1 :: v_dual_cndmask_b32 v2, v2, v7, s3
	v_cmp_lt_f32_e64 s3, v3, v7
	s_delay_alu instid0(VALU_DEP_1)
	v_cndmask_b32_e64 v3, v3, v7, s3
; %bb.508:
	s_or_b32 exec_lo, exec_lo, s4
	s_delay_alu instid0(SALU_CYCLE_1)
	s_or_b32 exec_lo, exec_lo, s5
	s_and_saveexec_b32 s4, s2
	s_cbranch_execz .LBB28_307
.LBB28_509:
	v_and_b32_e32 v1, 1, v1
	v_and_b32_e32 v7, 1, v12
	s_delay_alu instid0(VALU_DEP_2) | instskip(NEXT) | instid1(VALU_DEP_2)
	v_cmp_eq_u32_e64 s2, 1, v1
	v_cmp_eq_u32_e64 s3, 1, v7
                                        ; implicit-def: $vgpr1
	s_and_b32 s3, s2, s3
	s_delay_alu instid0(SALU_CYCLE_1) | instskip(NEXT) | instid1(SALU_CYCLE_1)
	s_xor_b32 s3, s3, -1
	s_and_saveexec_b32 s5, s3
	s_delay_alu instid0(SALU_CYCLE_1)
	s_xor_b32 s3, exec_lo, s5
	s_cbranch_execz .LBB28_513
; %bb.510:
	v_mov_b32_e32 v1, 1
	s_xor_b32 s5, s2, -1
	s_delay_alu instid0(SALU_CYCLE_1)
	s_and_saveexec_b32 s2, s5
; %bb.511:
	v_and_b32_e32 v1, 0xffff, v12
	v_dual_mov_b32 v3, v10 :: v_dual_mov_b32 v2, v10
; %bb.512:
	s_or_b32 exec_lo, exec_lo, s2
                                        ; implicit-def: $vgpr10
.LBB28_513:
	s_and_not1_saveexec_b32 s3, s3
; %bb.514:
	s_delay_alu instid0(VALU_DEP_1) | instskip(NEXT) | instid1(VALU_DEP_1)
	v_cmp_lt_f32_e64 s2, v10, v2
	v_dual_mov_b32 v1, 1 :: v_dual_cndmask_b32 v2, v2, v10, s2
	v_cmp_lt_f32_e64 s2, v3, v10
	s_delay_alu instid0(VALU_DEP_1)
	v_cndmask_b32_e64 v3, v3, v10, s2
; %bb.515:
	s_or_b32 exec_lo, exec_lo, s3
	s_delay_alu instid0(SALU_CYCLE_1)
	s_or_b32 exec_lo, exec_lo, s4
	s_and_saveexec_b32 s3, s1
	s_cbranch_execz .LBB28_308
.LBB28_516:
	v_and_b32_e32 v1, 1, v1
	v_and_b32_e32 v7, 1, v11
	s_delay_alu instid0(VALU_DEP_2) | instskip(NEXT) | instid1(VALU_DEP_2)
	v_cmp_eq_u32_e64 s1, 1, v1
	v_cmp_eq_u32_e64 s2, 1, v7
                                        ; implicit-def: $vgpr1
	s_and_b32 s2, s1, s2
	s_delay_alu instid0(SALU_CYCLE_1) | instskip(NEXT) | instid1(SALU_CYCLE_1)
	s_xor_b32 s2, s2, -1
	s_and_saveexec_b32 s4, s2
	s_delay_alu instid0(SALU_CYCLE_1)
	s_xor_b32 s2, exec_lo, s4
	s_cbranch_execz .LBB28_520
; %bb.517:
	v_mov_b32_e32 v1, 1
	s_xor_b32 s4, s1, -1
	s_delay_alu instid0(SALU_CYCLE_1)
	s_and_saveexec_b32 s1, s4
; %bb.518:
	v_and_b32_e32 v1, 0xffff, v11
	v_dual_mov_b32 v3, v5 :: v_dual_mov_b32 v2, v5
; %bb.519:
	s_or_b32 exec_lo, exec_lo, s1
                                        ; implicit-def: $vgpr5
.LBB28_520:
	s_and_not1_saveexec_b32 s2, s2
; %bb.521:
	s_delay_alu instid0(VALU_DEP_1) | instskip(NEXT) | instid1(VALU_DEP_1)
	v_cmp_lt_f32_e64 s1, v5, v2
	v_dual_mov_b32 v1, 1 :: v_dual_cndmask_b32 v2, v2, v5, s1
	v_cmp_lt_f32_e64 s1, v3, v5
	s_delay_alu instid0(VALU_DEP_1)
	v_cndmask_b32_e64 v3, v3, v5, s1
; %bb.522:
	s_or_b32 exec_lo, exec_lo, s2
	s_delay_alu instid0(SALU_CYCLE_1)
	s_or_b32 exec_lo, exec_lo, s3
	s_and_saveexec_b32 s2, s0
	s_cbranch_execz .LBB28_309
.LBB28_523:
	v_and_b32_e32 v1, 1, v1
	v_and_b32_e32 v5, 1, v9
	s_delay_alu instid0(VALU_DEP_2) | instskip(NEXT) | instid1(VALU_DEP_2)
	v_cmp_eq_u32_e64 s0, 1, v1
	v_cmp_eq_u32_e64 s1, 1, v5
                                        ; implicit-def: $vgpr1
	s_and_b32 s1, s0, s1
	s_delay_alu instid0(SALU_CYCLE_1) | instskip(NEXT) | instid1(SALU_CYCLE_1)
	s_xor_b32 s1, s1, -1
	s_and_saveexec_b32 s3, s1
	s_delay_alu instid0(SALU_CYCLE_1)
	s_xor_b32 s1, exec_lo, s3
	s_cbranch_execz .LBB28_527
; %bb.524:
	v_mov_b32_e32 v1, 1
	s_xor_b32 s3, s0, -1
	s_delay_alu instid0(SALU_CYCLE_1)
	s_and_saveexec_b32 s0, s3
; %bb.525:
	v_mov_b32_e32 v7, v6
	v_and_b32_e32 v1, 0xffff, v9
	s_delay_alu instid0(VALU_DEP_2)
	v_mov_b64_e32 v[2:3], v[6:7]
; %bb.526:
	s_or_b32 exec_lo, exec_lo, s0
                                        ; implicit-def: $vgpr6
.LBB28_527:
	s_and_not1_saveexec_b32 s1, s1
; %bb.528:
	s_delay_alu instid0(VALU_DEP_1) | instskip(NEXT) | instid1(VALU_DEP_1)
	v_cmp_lt_f32_e64 s0, v6, v2
	v_dual_mov_b32 v1, 1 :: v_dual_cndmask_b32 v2, v2, v6, s0
	s_delay_alu instid0(VALU_DEP_3) | instskip(NEXT) | instid1(VALU_DEP_1)
	v_cmp_lt_f32_e64 s0, v3, v6
	v_cndmask_b32_e64 v3, v3, v6, s0
; %bb.529:
	s_or_b32 exec_lo, exec_lo, s1
	s_delay_alu instid0(SALU_CYCLE_1)
	s_or_b32 exec_lo, exec_lo, s2
	s_and_saveexec_b32 s1, vcc_lo
	s_cbranch_execz .LBB28_537
.LBB28_530:
	v_and_b32_e32 v1, 1, v1
	v_and_b32_e32 v5, 1, v8
	s_delay_alu instid0(VALU_DEP_2) | instskip(NEXT) | instid1(VALU_DEP_2)
	v_cmp_eq_u32_e32 vcc_lo, 1, v1
	v_cmp_eq_u32_e64 s0, 1, v5
                                        ; implicit-def: $vgpr1
	s_and_b32 s0, vcc_lo, s0
	s_delay_alu instid0(SALU_CYCLE_1) | instskip(NEXT) | instid1(SALU_CYCLE_1)
	s_xor_b32 s0, s0, -1
	s_and_saveexec_b32 s2, s0
	s_delay_alu instid0(SALU_CYCLE_1)
	s_xor_b32 s0, exec_lo, s2
	s_cbranch_execz .LBB28_534
; %bb.531:
	v_mov_b32_e32 v1, 1
	s_xor_b32 s3, vcc_lo, -1
	s_delay_alu instid0(SALU_CYCLE_1)
	s_and_saveexec_b32 s2, s3
	s_cbranch_execz .LBB28_533
; %bb.532:
	s_wait_loadcnt 0x0
	v_mov_b32_e32 v5, v4
	v_and_b32_e32 v1, 0xffff, v8
	s_delay_alu instid0(VALU_DEP_2)
	v_mov_b64_e32 v[2:3], v[4:5]
.LBB28_533:
	s_or_b32 exec_lo, exec_lo, s2
                                        ; implicit-def: $vgpr4
.LBB28_534:
	s_and_not1_saveexec_b32 s0, s0
	s_cbranch_execz .LBB28_536
; %bb.535:
	s_wait_loadcnt 0x0
	s_delay_alu instid0(VALU_DEP_1)
	v_cmp_lt_f32_e32 vcc_lo, v3, v4
	v_dual_mov_b32 v1, 1 :: v_dual_cndmask_b32 v3, v3, v4, vcc_lo
	v_cmp_lt_f32_e32 vcc_lo, v4, v2
	v_cndmask_b32_e32 v2, v2, v4, vcc_lo
.LBB28_536:
	s_or_b32 exec_lo, exec_lo, s0
.LBB28_537:
	s_delay_alu instid0(SALU_CYCLE_1) | instskip(SKIP_4) | instid1(VALU_DEP_3)
	s_or_b32 exec_lo, exec_lo, s1
	v_mbcnt_lo_u32_b32 v6, -1, 0
	v_and_b32_e32 v7, 0x60, v0
	s_min_u32 s0, s10, 0x80
	v_mov_b32_e32 v10, v3
	v_cmp_ne_u32_e32 vcc_lo, 31, v6
	v_add_nc_u32_e32 v9, 1, v6
	v_sub_nc_u32_e64 v7, s0, v7 clamp
	s_wait_loadcnt 0x0
	v_add_co_ci_u32_e64 v4, null, 0, v6, vcc_lo
	s_delay_alu instid0(VALU_DEP_2) | instskip(NEXT) | instid1(VALU_DEP_2)
	v_cmp_lt_u32_e32 vcc_lo, v9, v7
	v_dual_mov_b32 v9, v2 :: v_dual_lshlrev_b32 v5, 2, v4
	ds_bpermute_b32 v8, v5, v1
	ds_bpermute_b32 v4, v5, v2
	;; [unrolled: 1-line block ×3, first 2 shown]
	s_and_saveexec_b32 s1, vcc_lo
	s_delay_alu instid0(SALU_CYCLE_1)
	s_xor_b32 s1, exec_lo, s1
	s_cbranch_execz .LBB28_545
; %bb.538:
	s_wait_dscnt 0x2
	v_and_b32_e32 v9, v8, v1
	s_mov_b32 s2, exec_lo
	s_delay_alu instid0(VALU_DEP_1)
	v_cmpx_ne_u32_e32 0, v9
	s_xor_b32 s2, exec_lo, s2
	s_cbranch_execz .LBB28_540
; %bb.539:
	s_wait_dscnt 0x0
	v_cmp_lt_f32_e32 vcc_lo, v3, v5
                                        ; implicit-def: $vgpr8
                                        ; implicit-def: $vgpr1
	v_cndmask_b32_e32 v5, v3, v5, vcc_lo
	v_cmp_lt_f32_e32 vcc_lo, v4, v2
	v_cndmask_b32_e32 v4, v2, v4, vcc_lo
                                        ; implicit-def: $vgpr2_vgpr3
.LBB28_540:
	s_or_saveexec_b32 s2, s2
	v_mov_b32_e32 v9, 1
	s_xor_b32 exec_lo, exec_lo, s2
	s_cbranch_execz .LBB28_544
; %bb.541:
	v_and_b32_e32 v1, 1, v1
	s_mov_b32 s3, exec_lo
	s_delay_alu instid0(VALU_DEP_1)
	v_cmpx_eq_u32_e32 1, v1
	s_cbranch_execz .LBB28_543
; %bb.542:
	s_wait_dscnt 0x0
	v_mov_b64_e32 v[4:5], v[2:3]
	v_mov_b32_e32 v8, 1
.LBB28_543:
	s_or_b32 exec_lo, exec_lo, s3
	s_delay_alu instid0(VALU_DEP_1)
	v_mov_b32_e32 v9, v8
.LBB28_544:
	s_or_b32 exec_lo, exec_lo, s2
	s_wait_dscnt 0x0
	s_delay_alu instid0(VALU_DEP_3) | instskip(NEXT) | instid1(VALU_DEP_2)
	v_mov_b64_e32 v[2:3], v[4:5]
	v_and_b32_e32 v1, 0xff, v9
	v_dual_mov_b32 v9, v4 :: v_dual_mov_b32 v10, v5
.LBB28_545:
	s_or_b32 exec_lo, exec_lo, s1
	v_cmp_gt_u32_e32 vcc_lo, 30, v6
	v_add_nc_u32_e32 v11, 2, v6
	s_mov_b32 s1, exec_lo
	s_wait_dscnt 0x1
	v_cndmask_b32_e64 v4, 0, 2, vcc_lo
	s_wait_dscnt 0x0
	s_delay_alu instid0(VALU_DEP_1)
	v_add_lshl_u32 v5, v4, v6, 2
	ds_bpermute_b32 v8, v5, v1
	ds_bpermute_b32 v4, v5, v9
	;; [unrolled: 1-line block ×3, first 2 shown]
	v_cmpx_lt_u32_e64 v11, v7
	s_cbranch_execz .LBB28_553
; %bb.546:
	s_wait_dscnt 0x2
	v_and_b32_e32 v9, v1, v8
	s_mov_b32 s2, exec_lo
	s_delay_alu instid0(VALU_DEP_1) | instskip(NEXT) | instid1(VALU_DEP_1)
	v_and_b32_e32 v9, 1, v9
	v_cmpx_eq_u32_e32 1, v9
	s_xor_b32 s2, exec_lo, s2
	s_cbranch_execz .LBB28_548
; %bb.547:
	s_wait_dscnt 0x0
	v_cmp_lt_f32_e32 vcc_lo, v3, v5
                                        ; implicit-def: $vgpr8
                                        ; implicit-def: $vgpr1
	v_cndmask_b32_e32 v5, v3, v5, vcc_lo
	v_cmp_lt_f32_e32 vcc_lo, v4, v2
	v_cndmask_b32_e32 v4, v2, v4, vcc_lo
                                        ; implicit-def: $vgpr2_vgpr3
.LBB28_548:
	s_or_saveexec_b32 s2, s2
	v_mov_b32_e32 v9, 1
	s_xor_b32 exec_lo, exec_lo, s2
	s_cbranch_execz .LBB28_552
; %bb.549:
	v_and_b32_e32 v1, 1, v1
	s_mov_b32 s3, exec_lo
	s_delay_alu instid0(VALU_DEP_1)
	v_cmpx_eq_u32_e32 1, v1
	s_cbranch_execz .LBB28_551
; %bb.550:
	s_wait_dscnt 0x0
	v_mov_b64_e32 v[4:5], v[2:3]
	v_mov_b32_e32 v8, 1
.LBB28_551:
	s_or_b32 exec_lo, exec_lo, s3
	s_delay_alu instid0(VALU_DEP_1)
	v_mov_b32_e32 v9, v8
.LBB28_552:
	s_or_b32 exec_lo, exec_lo, s2
	s_wait_dscnt 0x0
	s_delay_alu instid0(VALU_DEP_3) | instskip(NEXT) | instid1(VALU_DEP_2)
	v_mov_b64_e32 v[2:3], v[4:5]
	v_and_b32_e32 v1, 0xff, v9
	v_dual_mov_b32 v9, v4 :: v_dual_mov_b32 v10, v5
.LBB28_553:
	s_or_b32 exec_lo, exec_lo, s1
	v_cmp_gt_u32_e32 vcc_lo, 28, v6
	v_add_nc_u32_e32 v11, 4, v6
	s_mov_b32 s1, exec_lo
	s_wait_dscnt 0x1
	v_cndmask_b32_e64 v4, 0, 4, vcc_lo
	s_wait_dscnt 0x0
	s_delay_alu instid0(VALU_DEP_1)
	v_add_lshl_u32 v5, v4, v6, 2
	ds_bpermute_b32 v8, v5, v1
	ds_bpermute_b32 v4, v5, v9
	ds_bpermute_b32 v5, v5, v10
	v_cmpx_lt_u32_e64 v11, v7
	s_cbranch_execz .LBB28_561
; %bb.554:
	s_wait_dscnt 0x2
	v_and_b32_e32 v9, v1, v8
	s_mov_b32 s2, exec_lo
	s_delay_alu instid0(VALU_DEP_1) | instskip(NEXT) | instid1(VALU_DEP_1)
	v_and_b32_e32 v9, 1, v9
	v_cmpx_eq_u32_e32 1, v9
	s_xor_b32 s2, exec_lo, s2
	s_cbranch_execz .LBB28_556
; %bb.555:
	s_wait_dscnt 0x1
	v_cmp_gt_f32_e32 vcc_lo, v2, v4
                                        ; implicit-def: $vgpr8
                                        ; implicit-def: $vgpr1
	v_cndmask_b32_e32 v4, v2, v4, vcc_lo
	s_wait_dscnt 0x0
	v_cmp_lt_f32_e32 vcc_lo, v3, v5
	v_cndmask_b32_e32 v5, v3, v5, vcc_lo
                                        ; implicit-def: $vgpr2_vgpr3
.LBB28_556:
	s_or_saveexec_b32 s2, s2
	v_mov_b32_e32 v9, 1
	s_xor_b32 exec_lo, exec_lo, s2
	s_cbranch_execz .LBB28_560
; %bb.557:
	v_and_b32_e32 v1, 1, v1
	s_mov_b32 s3, exec_lo
	s_delay_alu instid0(VALU_DEP_1)
	v_cmpx_eq_u32_e32 1, v1
	s_cbranch_execz .LBB28_559
; %bb.558:
	s_wait_dscnt 0x0
	v_mov_b64_e32 v[4:5], v[2:3]
	v_mov_b32_e32 v8, 1
.LBB28_559:
	s_or_b32 exec_lo, exec_lo, s3
	s_delay_alu instid0(VALU_DEP_1)
	v_mov_b32_e32 v9, v8
.LBB28_560:
	s_or_b32 exec_lo, exec_lo, s2
	s_wait_dscnt 0x0
	s_delay_alu instid0(VALU_DEP_3) | instskip(NEXT) | instid1(VALU_DEP_2)
	v_mov_b64_e32 v[2:3], v[4:5]
	v_and_b32_e32 v1, 0xff, v9
	v_dual_mov_b32 v9, v4 :: v_dual_mov_b32 v10, v5
.LBB28_561:
	s_or_b32 exec_lo, exec_lo, s1
	v_cmp_gt_u32_e32 vcc_lo, 24, v6
	v_add_nc_u32_e32 v11, 8, v6
	s_mov_b32 s1, exec_lo
	s_wait_dscnt 0x1
	v_cndmask_b32_e64 v4, 0, 8, vcc_lo
	s_wait_dscnt 0x0
	s_delay_alu instid0(VALU_DEP_1)
	v_add_lshl_u32 v5, v4, v6, 2
	ds_bpermute_b32 v8, v5, v1
	ds_bpermute_b32 v4, v5, v9
	;; [unrolled: 1-line block ×3, first 2 shown]
	v_cmpx_lt_u32_e64 v11, v7
	s_cbranch_execz .LBB28_569
; %bb.562:
	s_wait_dscnt 0x2
	v_and_b32_e32 v9, v1, v8
	s_mov_b32 s2, exec_lo
	s_delay_alu instid0(VALU_DEP_1) | instskip(NEXT) | instid1(VALU_DEP_1)
	v_and_b32_e32 v9, 1, v9
	v_cmpx_eq_u32_e32 1, v9
	s_xor_b32 s2, exec_lo, s2
	s_cbranch_execz .LBB28_564
; %bb.563:
	s_wait_dscnt 0x0
	v_cmp_gt_f32_e32 vcc_lo, v5, v3
                                        ; implicit-def: $vgpr8
                                        ; implicit-def: $vgpr1
	v_cndmask_b32_e32 v5, v3, v5, vcc_lo
	v_cmp_gt_f32_e32 vcc_lo, v2, v4
	v_cndmask_b32_e32 v4, v2, v4, vcc_lo
                                        ; implicit-def: $vgpr2_vgpr3
.LBB28_564:
	s_or_saveexec_b32 s2, s2
	v_mov_b32_e32 v9, 1
	s_xor_b32 exec_lo, exec_lo, s2
	s_cbranch_execz .LBB28_568
; %bb.565:
	v_and_b32_e32 v1, 1, v1
	s_mov_b32 s3, exec_lo
	s_delay_alu instid0(VALU_DEP_1)
	v_cmpx_eq_u32_e32 1, v1
	s_cbranch_execz .LBB28_567
; %bb.566:
	s_wait_dscnt 0x0
	v_mov_b64_e32 v[4:5], v[2:3]
	v_mov_b32_e32 v8, 1
.LBB28_567:
	s_or_b32 exec_lo, exec_lo, s3
	s_delay_alu instid0(VALU_DEP_1)
	v_mov_b32_e32 v9, v8
.LBB28_568:
	s_or_b32 exec_lo, exec_lo, s2
	s_wait_dscnt 0x0
	s_delay_alu instid0(VALU_DEP_3) | instskip(NEXT) | instid1(VALU_DEP_2)
	v_mov_b64_e32 v[2:3], v[4:5]
	v_and_b32_e32 v1, 0xff, v9
	v_dual_mov_b32 v9, v4 :: v_dual_mov_b32 v10, v5
.LBB28_569:
	s_or_b32 exec_lo, exec_lo, s1
	s_wait_dscnt 0x2
	v_lshlrev_b32_e32 v8, 2, v6
	s_wait_dscnt 0x0
	s_delay_alu instid0(VALU_DEP_1) | instskip(SKIP_2) | instid1(VALU_DEP_1)
	v_or_b32_e32 v5, 64, v8
	ds_bpermute_b32 v4, v5, v9
	v_add_nc_u32_e32 v9, 16, v6
	v_cmp_lt_u32_e32 vcc_lo, v9, v7
	v_mov_b32_e32 v7, v1
	ds_bpermute_b32 v11, v5, v1
	ds_bpermute_b32 v5, v5, v10
	s_and_saveexec_b32 s1, vcc_lo
	s_cbranch_execz .LBB28_577
; %bb.570:
	s_wait_dscnt 0x1
	v_and_b32_e32 v7, v1, v11
	s_mov_b32 s2, exec_lo
	s_delay_alu instid0(VALU_DEP_1) | instskip(NEXT) | instid1(VALU_DEP_1)
	v_and_b32_e32 v7, 1, v7
	v_cmpx_eq_u32_e32 1, v7
	s_xor_b32 s2, exec_lo, s2
	s_cbranch_execz .LBB28_572
; %bb.571:
	s_wait_dscnt 0x0
	v_cmp_gt_f32_e32 vcc_lo, v5, v3
                                        ; implicit-def: $vgpr11
                                        ; implicit-def: $vgpr1
	v_cndmask_b32_e32 v5, v3, v5, vcc_lo
	v_cmp_gt_f32_e32 vcc_lo, v2, v4
	v_cndmask_b32_e32 v4, v2, v4, vcc_lo
                                        ; implicit-def: $vgpr2_vgpr3
.LBB28_572:
	s_or_saveexec_b32 s2, s2
	v_mov_b32_e32 v7, 1
	s_xor_b32 exec_lo, exec_lo, s2
	s_cbranch_execz .LBB28_576
; %bb.573:
	v_and_b32_e32 v1, 1, v1
	s_mov_b32 s3, exec_lo
	s_delay_alu instid0(VALU_DEP_1)
	v_cmpx_eq_u32_e32 1, v1
	s_cbranch_execz .LBB28_575
; %bb.574:
	s_wait_dscnt 0x0
	v_mov_b64_e32 v[4:5], v[2:3]
	v_mov_b32_e32 v11, 1
.LBB28_575:
	s_or_b32 exec_lo, exec_lo, s3
	s_delay_alu instid0(VALU_DEP_1)
	v_mov_b32_e32 v7, v11
.LBB28_576:
	s_or_b32 exec_lo, exec_lo, s2
	s_wait_dscnt 0x0
	s_delay_alu instid0(VALU_DEP_3) | instskip(NEXT) | instid1(VALU_DEP_2)
	v_mov_b64_e32 v[2:3], v[4:5]
	v_and_b32_e32 v1, 0xff, v7
.LBB28_577:
	s_or_b32 exec_lo, exec_lo, s1
	s_delay_alu instid0(SALU_CYCLE_1)
	s_mov_b32 s1, exec_lo
	v_cmpx_eq_u32_e32 0, v6
	s_cbranch_execz .LBB28_579
; %bb.578:
	s_wait_dscnt 0x2
	v_lshrrev_b32_e32 v4, 5, v0
	s_delay_alu instid0(VALU_DEP_1)
	v_mul_u32_u24_e32 v4, 12, v4
	ds_store_b8 v4, v7
	ds_store_2addr_b32 v4, v2, v3 offset0:1 offset1:2
.LBB28_579:
	s_or_b32 exec_lo, exec_lo, s1
	s_delay_alu instid0(SALU_CYCLE_1)
	s_mov_b32 s1, exec_lo
	s_wait_dscnt 0x0
	s_barrier_signal -1
	s_barrier_wait -1
	v_cmpx_gt_u32_e32 4, v0
	s_cbranch_execz .LBB28_597
; %bb.580:
	v_mul_u32_u24_e32 v1, 12, v6
	v_and_b32_e32 v7, 3, v6
	s_add_co_i32 s0, s0, 31
	ds_load_u8 v9, v1
	ds_load_2addr_b32 v[2:3], v1 offset0:1 offset1:2
	v_cmp_ne_u32_e32 vcc_lo, 3, v7
	s_lshr_b32 s0, s0, 5
	v_add_co_ci_u32_e64 v1, null, 0, v6, vcc_lo
	s_delay_alu instid0(VALU_DEP_1)
	v_dual_lshlrev_b32 v5, 2, v1 :: v_dual_add_nc_u32 v10, 1, v7
	s_wait_dscnt 0x1
	v_and_b32_e32 v1, 0xff, v9
	s_wait_dscnt 0x0
	ds_bpermute_b32 v4, v5, v2
	v_mov_b32_e32 v11, v3
	v_cmp_gt_u32_e32 vcc_lo, s0, v10
	v_mov_b32_e32 v10, v2
	ds_bpermute_b32 v6, v5, v1
	ds_bpermute_b32 v5, v5, v3
	s_and_saveexec_b32 s2, vcc_lo
	s_cbranch_execz .LBB28_588
; %bb.581:
	s_wait_dscnt 0x1
	v_and_b32_e32 v1, v1, v6
	s_mov_b32 s3, exec_lo
	s_delay_alu instid0(VALU_DEP_1) | instskip(NEXT) | instid1(VALU_DEP_1)
	v_and_b32_e32 v1, 1, v1
	v_cmpx_eq_u32_e32 1, v1
	s_xor_b32 s3, exec_lo, s3
	s_cbranch_execz .LBB28_583
; %bb.582:
	s_wait_dscnt 0x0
	v_cmp_gt_f32_e32 vcc_lo, v5, v3
                                        ; implicit-def: $vgpr6
                                        ; implicit-def: $vgpr9
	v_cndmask_b32_e32 v5, v3, v5, vcc_lo
	v_cmp_gt_f32_e32 vcc_lo, v2, v4
	v_cndmask_b32_e32 v4, v2, v4, vcc_lo
                                        ; implicit-def: $vgpr2_vgpr3
.LBB28_583:
	s_or_saveexec_b32 s3, s3
	v_mov_b32_e32 v1, 1
	s_xor_b32 exec_lo, exec_lo, s3
	s_cbranch_execz .LBB28_587
; %bb.584:
	v_and_b32_e32 v1, 1, v9
	s_mov_b32 s4, exec_lo
	s_delay_alu instid0(VALU_DEP_1)
	v_cmpx_eq_u32_e32 1, v1
	s_cbranch_execz .LBB28_586
; %bb.585:
	s_wait_dscnt 0x0
	v_mov_b64_e32 v[4:5], v[2:3]
	v_mov_b32_e32 v6, 1
.LBB28_586:
	s_or_b32 exec_lo, exec_lo, s4
	s_delay_alu instid0(VALU_DEP_1)
	v_mov_b32_e32 v1, v6
.LBB28_587:
	s_or_b32 exec_lo, exec_lo, s3
	s_wait_dscnt 0x0
	s_delay_alu instid0(VALU_DEP_3) | instskip(NEXT) | instid1(VALU_DEP_2)
	v_mov_b64_e32 v[2:3], v[4:5]
	v_and_b32_e32 v1, 0xff, v1
	v_dual_mov_b32 v10, v4 :: v_dual_mov_b32 v11, v5
.LBB28_588:
	s_or_b32 exec_lo, exec_lo, s2
	s_wait_dscnt 0x0
	v_dual_add_nc_u32 v7, 2, v7 :: v_dual_bitop2_b32 v5, 8, v8 bitop3:0x54
	ds_bpermute_b32 v6, v5, v1
	ds_bpermute_b32 v4, v5, v10
	;; [unrolled: 1-line block ×3, first 2 shown]
	v_cmp_gt_u32_e32 vcc_lo, s0, v7
	s_and_saveexec_b32 s0, vcc_lo
	s_cbranch_execz .LBB28_596
; %bb.589:
	s_wait_dscnt 0x2
	v_and_b32_e32 v7, v1, v6
	s_mov_b32 s2, exec_lo
	s_delay_alu instid0(VALU_DEP_1) | instskip(NEXT) | instid1(VALU_DEP_1)
	v_and_b32_e32 v7, 1, v7
	v_cmpx_eq_u32_e32 1, v7
	s_xor_b32 s2, exec_lo, s2
	s_cbranch_execz .LBB28_591
; %bb.590:
	s_wait_dscnt 0x0
	v_cmp_gt_f32_e32 vcc_lo, v5, v3
                                        ; implicit-def: $vgpr6
                                        ; implicit-def: $vgpr1
	v_cndmask_b32_e32 v5, v3, v5, vcc_lo
	v_cmp_gt_f32_e32 vcc_lo, v2, v4
	v_cndmask_b32_e32 v4, v2, v4, vcc_lo
                                        ; implicit-def: $vgpr2_vgpr3
.LBB28_591:
	s_or_saveexec_b32 s2, s2
	v_mov_b32_e32 v7, 1
	s_xor_b32 exec_lo, exec_lo, s2
	s_cbranch_execz .LBB28_595
; %bb.592:
	v_and_b32_e32 v1, 1, v1
	s_mov_b32 s3, exec_lo
	s_delay_alu instid0(VALU_DEP_1)
	v_cmpx_eq_u32_e32 1, v1
	s_cbranch_execz .LBB28_594
; %bb.593:
	s_wait_dscnt 0x0
	v_mov_b64_e32 v[4:5], v[2:3]
	v_mov_b32_e32 v6, 1
.LBB28_594:
	s_or_b32 exec_lo, exec_lo, s3
	s_delay_alu instid0(VALU_DEP_1)
	v_mov_b32_e32 v7, v6
.LBB28_595:
	s_or_b32 exec_lo, exec_lo, s2
	s_wait_dscnt 0x0
	s_delay_alu instid0(VALU_DEP_3) | instskip(NEXT) | instid1(VALU_DEP_2)
	v_mov_b64_e32 v[2:3], v[4:5]
	v_mov_b32_e32 v1, v7
.LBB28_596:
	s_or_b32 exec_lo, exec_lo, s0
.LBB28_597:
	s_delay_alu instid0(SALU_CYCLE_1)
	s_or_b32 exec_lo, exec_lo, s1
.LBB28_598:
	s_delay_alu instid0(SALU_CYCLE_1)
	s_mov_b32 s0, exec_lo
                                        ; implicit-def: $vgpr4_vgpr5
                                        ; implicit-def: $vgpr6
	v_cmpx_eq_u32_e32 0, v0
	s_xor_b32 s0, exec_lo, s0
	s_cbranch_execz .LBB28_606
; %bb.599:
	s_wait_dscnt 0x0
	v_mov_b64_e32 v[4:5], s[24:25]
	v_mov_b32_e32 v6, s30
	s_cmp_eq_u64 s[20:21], 0
	s_cbranch_scc1 .LBB28_605
; %bb.600:
	v_and_b32_e32 v4, 1, v1
	s_bitcmp1_b32 s30, 0
                                        ; implicit-def: $vgpr6
	s_cselect_b32 s2, -1, 0
	s_delay_alu instid0(VALU_DEP_1) | instskip(SKIP_1) | instid1(SALU_CYCLE_1)
	v_cmp_eq_u32_e32 vcc_lo, 1, v4
                                        ; implicit-def: $vgpr4_vgpr5
	s_and_b32 s1, s2, vcc_lo
	s_xor_b32 s1, s1, -1
	s_delay_alu instid0(SALU_CYCLE_1) | instskip(NEXT) | instid1(SALU_CYCLE_1)
	s_and_saveexec_b32 s3, s1
	s_xor_b32 s1, exec_lo, s3
; %bb.601:
	v_cndmask_b32_e64 v6, v1, 1, s2
	v_cndmask_b32_e64 v5, v3, s25, s2
	v_cndmask_b32_e64 v4, v2, s24, s2
                                        ; implicit-def: $vgpr2_vgpr3
; %bb.602:
	s_and_not1_saveexec_b32 s1, s1
; %bb.603:
	v_cmp_lt_f32_e32 vcc_lo, s25, v3
	v_dual_mov_b32 v6, 1 :: v_dual_cndmask_b32 v5, s25, v3
	v_cmp_gt_f32_e32 vcc_lo, s24, v2
	v_cndmask_b32_e32 v4, s24, v2, vcc_lo
; %bb.604:
	s_or_b32 exec_lo, exec_lo, s1
.LBB28_605:
	s_delay_alu instid0(SALU_CYCLE_1)
	s_or_b32 s8, s8, exec_lo
.LBB28_606:
	s_or_b32 exec_lo, exec_lo, s0
	s_branch .LBB28_675
.LBB28_607:
	s_cmp_eq_u32 s28, 4
	s_cbranch_scc0 .LBB28_674
; %bb.608:
	s_bfe_u32 s0, ttmp6, 0x4000c
	s_and_b32 s1, ttmp6, 15
	s_add_co_i32 s0, s0, 1
	s_getreg_b32 s2, hwreg(HW_REG_IB_STS2, 6, 4)
	s_mul_i32 s0, ttmp9, s0
	s_mov_b32 s27, 0
	s_add_co_i32 s1, s1, s0
	s_cmp_eq_u32 s2, 0
	s_mov_b32 s5, s27
	s_cselect_b32 s26, ttmp9, s1
	s_lshr_b64 s[0:1], s[20:21], 9
	s_lshl_b32 s4, s26, 9
	s_delay_alu instid0(SALU_CYCLE_1)
	s_lshl_b64 s[2:3], s[4:5], 2
	s_add_co_i32 s9, s29, s4
	s_cmp_lg_u64 s[0:1], s[26:27]
	s_add_nc_u64 s[2:3], s[16:17], s[2:3]
	s_cbranch_scc0 .LBB28_676
; %bb.609:
	s_wait_dscnt 0x1
	global_load_b32 v2, v0, s[2:3] scale_offset
	s_wait_dscnt 0x0
	s_clause 0x2
	global_load_b32 v5, v0, s[2:3] offset:512 scale_offset
	global_load_b32 v6, v0, s[2:3] offset:1024 scale_offset
	;; [unrolled: 1-line block ×3, first 2 shown]
	s_abs_i32 s5, s19
	v_add_nc_u32_e32 v7, s9, v0
	s_cvt_f32_u32 s0, s5
	s_sub_co_i32 s1, 0, s5
	s_mov_b32 s7, s27
	s_delay_alu instid0(SALU_CYCLE_1) | instskip(SKIP_1) | instid1(TRANS32_DEP_1)
	v_rcp_iflag_f32_e32 v1, s0
	v_nop
	v_readfirstlane_b32 s0, v1
	v_sub_nc_u32_e32 v1, 0, v7
	s_mul_f32 s0, s0, 0x4f7ffffe
	s_delay_alu instid0(VALU_DEP_1) | instskip(NEXT) | instid1(SALU_CYCLE_2)
	v_max_i32_e32 v1, v7, v1
	s_cvt_u32_f32 s0, s0
	s_delay_alu instid0(SALU_CYCLE_3) | instskip(NEXT) | instid1(SALU_CYCLE_1)
	s_mul_i32 s1, s1, s0
	s_mul_hi_u32 s1, s0, s1
	s_delay_alu instid0(SALU_CYCLE_1) | instskip(NEXT) | instid1(SALU_CYCLE_1)
	s_add_co_i32 s6, s0, s1
	v_mul_hi_u32 v9, v1, s6
	s_delay_alu instid0(VALU_DEP_1) | instskip(NEXT) | instid1(VALU_DEP_1)
	v_mul_lo_u32 v9, v9, s5
	v_sub_nc_u32_e32 v1, v1, v9
	v_add_nc_u32_e32 v3, 0x80, v7
	s_delay_alu instid0(VALU_DEP_2) | instskip(SKIP_1) | instid1(VALU_DEP_2)
	v_subrev_nc_u32_e32 v9, s5, v1
	v_cmp_le_u32_e32 vcc_lo, s5, v1
	v_dual_cndmask_b32 v1, v1, v9 :: v_dual_sub_nc_u32 v8, 0xffffff80, v7
	s_delay_alu instid0(VALU_DEP_1) | instskip(NEXT) | instid1(VALU_DEP_2)
	v_max_i32_e32 v8, v3, v8
	v_subrev_nc_u32_e32 v9, s5, v1
	s_delay_alu instid0(VALU_DEP_2) | instskip(NEXT) | instid1(VALU_DEP_1)
	v_mul_hi_u32 v10, v8, s6
	v_mul_lo_u32 v10, v10, s5
	s_delay_alu instid0(VALU_DEP_1) | instskip(NEXT) | instid1(VALU_DEP_1)
	v_sub_nc_u32_e32 v8, v8, v10
	v_subrev_nc_u32_e32 v10, s5, v8
	v_cmp_le_u32_e32 vcc_lo, s5, v8
	s_delay_alu instid0(VALU_DEP_2) | instskip(SKIP_2) | instid1(VALU_DEP_3)
	v_cndmask_b32_e32 v8, v8, v10, vcc_lo
	v_cmp_le_u32_e32 vcc_lo, s5, v1
	v_ashrrev_i32_e32 v10, 31, v7
	v_subrev_nc_u32_e32 v11, s5, v8
	v_cndmask_b32_e32 v1, v1, v9, vcc_lo
	v_cmp_le_u32_e32 vcc_lo, s5, v8
	v_dual_ashrrev_i32 v3, 31, v3 :: v_dual_mov_b32 v9, 0
	s_delay_alu instid0(VALU_DEP_3) | instskip(NEXT) | instid1(VALU_DEP_2)
	v_dual_cndmask_b32 v8, v8, v11, vcc_lo :: v_dual_bitop2_b32 v1, v1, v10 bitop3:0x14
	v_mov_b32_e32 v11, v9
	s_delay_alu instid0(VALU_DEP_2) | instskip(SKIP_1) | instid1(VALU_DEP_2)
	v_dual_sub_nc_u32 v1, v1, v10 :: v_dual_bitop2_b32 v8, v8, v3 bitop3:0x14
	v_sub_nc_u32_e32 v10, 0xffffff00, v7
	v_cmp_le_i32_e64 s0, s18, v1
	s_delay_alu instid0(VALU_DEP_3) | instskip(SKIP_3) | instid1(VALU_DEP_3)
	v_sub_nc_u32_e32 v8, v8, v3
	v_add_nc_u32_e32 v3, 0x100, v7
	v_add_nc_u32_e32 v1, 0x180, v7
	v_sub_nc_u32_e32 v7, 0xfffffe80, v7
	v_max_i32_e32 v10, v3, v10
	v_cmp_le_i32_e64 s1, s18, v8
	v_cmp_gt_i32_e32 vcc_lo, s18, v8
	s_or_b32 s10, s0, s1
                                        ; implicit-def: $sgpr1
	s_wait_xcnt 0x0
	s_and_saveexec_b32 s11, s10
	s_delay_alu instid0(SALU_CYCLE_1)
	s_xor_b32 s10, exec_lo, s11
	s_cbranch_execz .LBB28_613
; %bb.610:
	s_mov_b32 s1, -1
	s_and_saveexec_b32 s11, s0
	s_cbranch_execz .LBB28_612
; %bb.611:
	s_wait_loadcnt 0x2
	v_mov_b32_e32 v2, v5
	s_or_not1_b32 s1, vcc_lo, exec_lo
.LBB28_612:
	s_or_b32 exec_lo, exec_lo, s11
                                        ; implicit-def: $vgpr5
.LBB28_613:
	s_or_saveexec_b32 s0, s10
	v_mul_u64_e32 v[12:13], s[6:7], v[10:11]
	v_max_i32_e32 v8, v1, v7
	s_wait_loadcnt 0x3
	v_dual_ashrrev_i32 v7, 31, v3 :: v_dual_mov_b32 v3, v2
	s_xor_b32 exec_lo, exec_lo, s0
	s_cbranch_execz .LBB28_615
; %bb.614:
	s_wait_loadcnt 0x2
	v_cmp_lt_f32_e32 vcc_lo, v5, v2
	s_or_b32 s1, s1, exec_lo
	v_cndmask_b32_e32 v11, v2, v5, vcc_lo
	v_cmp_lt_f32_e32 vcc_lo, v2, v5
	s_delay_alu instid0(VALU_DEP_2)
	v_dual_cndmask_b32 v3, v2, v5 :: v_dual_mov_b32 v2, v11
.LBB28_615:
	s_or_b32 exec_lo, exec_lo, s0
	s_wait_loadcnt 0x2
	s_delay_alu instid0(VALU_DEP_3) | instskip(SKIP_1) | instid1(VALU_DEP_1)
	v_mul_lo_u32 v5, v13, s5
	s_mov_b32 s0, -1
	v_sub_nc_u32_e32 v5, v10, v5
	s_delay_alu instid0(VALU_DEP_1) | instskip(SKIP_1) | instid1(VALU_DEP_2)
	v_subrev_nc_u32_e32 v10, s5, v5
	v_cmp_le_u32_e32 vcc_lo, s5, v5
	v_cndmask_b32_e32 v5, v5, v10, vcc_lo
	s_delay_alu instid0(VALU_DEP_1) | instskip(SKIP_1) | instid1(VALU_DEP_2)
	v_subrev_nc_u32_e32 v10, s5, v5
	v_cmp_le_u32_e32 vcc_lo, s5, v5
	v_cndmask_b32_e32 v5, v5, v10, vcc_lo
	s_delay_alu instid0(VALU_DEP_1) | instskip(NEXT) | instid1(VALU_DEP_1)
	v_xor_b32_e32 v5, v5, v7
	v_sub_nc_u32_e32 v5, v5, v7
	s_delay_alu instid0(VALU_DEP_1) | instskip(SKIP_1) | instid1(SALU_CYCLE_1)
	v_cmp_gt_i32_e32 vcc_lo, s18, v5
	s_and_b32 s10, vcc_lo, s1
	s_xor_b32 s10, s10, -1
	s_delay_alu instid0(SALU_CYCLE_1) | instskip(NEXT) | instid1(SALU_CYCLE_1)
	s_and_saveexec_b32 s11, s10
	s_xor_b32 s10, exec_lo, s11
	s_cbranch_execz .LBB28_619
; %bb.616:
	s_xor_b32 s11, s1, -1
	s_delay_alu instid0(SALU_CYCLE_1)
	s_and_saveexec_b32 s1, s11
	s_cbranch_execz .LBB28_618
; %bb.617:
	s_wait_loadcnt 0x1
	v_mov_b32_e32 v7, v6
	s_or_not1_b32 s0, vcc_lo, exec_lo
	s_delay_alu instid0(VALU_DEP_1)
	v_mov_b64_e32 v[2:3], v[6:7]
.LBB28_618:
	s_or_b32 exec_lo, exec_lo, s1
                                        ; implicit-def: $vgpr6
.LBB28_619:
	s_or_saveexec_b32 s1, s10
	v_mul_u64_e32 v[10:11], s[6:7], v[8:9]
	v_ashrrev_i32_e32 v1, 31, v1
	s_xor_b32 exec_lo, exec_lo, s1
	s_cbranch_execz .LBB28_621
; %bb.620:
	s_wait_loadcnt 0x1
	v_cmp_lt_f32_e32 vcc_lo, v6, v2
	s_or_b32 s0, s0, exec_lo
	v_cndmask_b32_e32 v2, v2, v6, vcc_lo
	v_cmp_lt_f32_e32 vcc_lo, v3, v6
	v_cndmask_b32_e32 v3, v3, v6, vcc_lo
.LBB28_621:
	s_or_b32 exec_lo, exec_lo, s1
	s_delay_alu instid0(VALU_DEP_2) | instskip(NEXT) | instid1(VALU_DEP_1)
	v_mul_lo_u32 v5, v11, s5
	v_sub_nc_u32_e32 v5, v8, v5
	s_wait_loadcnt 0x1
	s_delay_alu instid0(VALU_DEP_1) | instskip(SKIP_1) | instid1(VALU_DEP_2)
	v_subrev_nc_u32_e32 v6, s5, v5
	v_cmp_le_u32_e32 vcc_lo, s5, v5
	v_cndmask_b32_e32 v5, v5, v6, vcc_lo
	s_delay_alu instid0(VALU_DEP_1) | instskip(SKIP_1) | instid1(VALU_DEP_2)
	v_subrev_nc_u32_e32 v6, s5, v5
	v_cmp_le_u32_e32 vcc_lo, s5, v5
	v_cndmask_b32_e32 v5, v5, v6, vcc_lo
	s_delay_alu instid0(VALU_DEP_1) | instskip(NEXT) | instid1(VALU_DEP_1)
	v_xor_b32_e32 v5, v5, v1
	v_sub_nc_u32_e32 v1, v5, v1
	s_delay_alu instid0(VALU_DEP_1) | instskip(SKIP_1) | instid1(SALU_CYCLE_1)
	v_cmp_gt_i32_e32 vcc_lo, s18, v1
                                        ; implicit-def: $vgpr1
	s_and_b32 s1, vcc_lo, s0
	s_xor_b32 s1, s1, -1
	s_delay_alu instid0(SALU_CYCLE_1) | instskip(NEXT) | instid1(SALU_CYCLE_1)
	s_and_saveexec_b32 s5, s1
	s_xor_b32 s1, exec_lo, s5
	s_cbranch_execz .LBB28_625
; %bb.622:
	v_mov_b32_e32 v1, 1
	s_xor_b32 s5, s0, -1
	s_delay_alu instid0(SALU_CYCLE_1)
	s_and_saveexec_b32 s0, s5
	s_cbranch_execz .LBB28_624
; %bb.623:
	s_wait_loadcnt 0x0
	v_mov_b32_e32 v5, v4
	v_cndmask_b32_e64 v1, 0, 1, vcc_lo
	s_delay_alu instid0(VALU_DEP_2)
	v_mov_b64_e32 v[2:3], v[4:5]
.LBB28_624:
	s_or_b32 exec_lo, exec_lo, s0
                                        ; implicit-def: $vgpr4
.LBB28_625:
	s_and_not1_saveexec_b32 s0, s1
	s_cbranch_execz .LBB28_627
; %bb.626:
	s_wait_loadcnt 0x0
	s_delay_alu instid0(VALU_DEP_1)
	v_cmp_lt_f32_e32 vcc_lo, v3, v4
	v_dual_mov_b32 v1, 1 :: v_dual_cndmask_b32 v3, v3, v4, vcc_lo
	v_cmp_lt_f32_e32 vcc_lo, v4, v2
	v_cndmask_b32_e32 v2, v2, v4, vcc_lo
.LBB28_627:
	s_or_b32 exec_lo, exec_lo, s0
	s_delay_alu instid0(VALU_DEP_3) | instskip(SKIP_3) | instid1(VALU_DEP_3)
	v_and_b32_e32 v6, 0xff, v1
	v_and_b32_e32 v1, 1, v1
	v_mov_b32_dpp v5, v3 quad_perm:[1,0,3,2] row_mask:0xf bank_mask:0xf
	s_wait_loadcnt 0x0
	v_mov_b32_dpp v4, v6 quad_perm:[1,0,3,2] row_mask:0xf bank_mask:0xf
	s_delay_alu instid0(VALU_DEP_3) | instskip(NEXT) | instid1(VALU_DEP_2)
	v_cmp_eq_u32_e64 s0, 1, v1
                                        ; implicit-def: $vgpr1
	v_and_b32_e32 v4, 1, v4
	s_delay_alu instid0(VALU_DEP_1) | instskip(SKIP_2) | instid1(SALU_CYCLE_1)
	v_cmp_eq_u32_e32 vcc_lo, 1, v4
	v_mov_b32_dpp v4, v2 quad_perm:[1,0,3,2] row_mask:0xf bank_mask:0xf
	s_and_b32 s0, vcc_lo, s0
	s_xor_b32 s0, s0, -1
	s_delay_alu instid0(SALU_CYCLE_1) | instskip(NEXT) | instid1(SALU_CYCLE_1)
	s_and_saveexec_b32 s1, s0
	s_xor_b32 s0, exec_lo, s1
	s_cbranch_execz .LBB28_631
; %bb.628:
	v_mov_b32_e32 v1, 1
	s_xor_b32 s5, vcc_lo, -1
	s_delay_alu instid0(SALU_CYCLE_1)
	s_and_saveexec_b32 s1, s5
; %bb.629:
	v_mov_b64_e32 v[4:5], v[2:3]
	v_mov_b32_e32 v1, v6
; %bb.630:
	s_or_b32 exec_lo, exec_lo, s1
                                        ; implicit-def: $vgpr2_vgpr3
.LBB28_631:
	s_and_not1_saveexec_b32 s0, s0
; %bb.632:
	s_delay_alu instid0(VALU_DEP_2) | instskip(SKIP_1) | instid1(VALU_DEP_4)
	v_cmp_lt_f32_e32 vcc_lo, v5, v3
	v_dual_mov_b32 v1, 1 :: v_dual_cndmask_b32 v5, v5, v3, vcc_lo
	v_cmp_lt_f32_e32 vcc_lo, v2, v4
	v_cndmask_b32_e32 v4, v4, v2, vcc_lo
; %bb.633:
	s_or_b32 exec_lo, exec_lo, s0
	s_delay_alu instid0(VALU_DEP_3) | instskip(NEXT) | instid1(VALU_DEP_1)
	v_mov_b32_dpp v2, v1 quad_perm:[2,3,0,1] row_mask:0xf bank_mask:0xf
	v_and_b32_e32 v3, v2, v1
	v_and_b32_e32 v6, 1, v2
	v_mov_b32_dpp v2, v4 quad_perm:[2,3,0,1] row_mask:0xf bank_mask:0xf
	s_delay_alu instid0(VALU_DEP_3) | instskip(SKIP_1) | instid1(VALU_DEP_4)
	v_and_b32_e32 v7, 1, v3
	v_mov_b32_dpp v3, v5 quad_perm:[2,3,0,1] row_mask:0xf bank_mask:0xf
	v_cmp_ne_u32_e32 vcc_lo, 1, v6
                                        ; implicit-def: $vgpr6
	s_delay_alu instid0(VALU_DEP_3) | instskip(SKIP_1) | instid1(SALU_CYCLE_1)
	v_cmp_ne_u32_e64 s0, 1, v7
	s_and_saveexec_b32 s1, s0
	s_xor_b32 s0, exec_lo, s1
	s_cbranch_execz .LBB28_637
; %bb.634:
	v_mov_b32_e32 v6, 1
	s_and_saveexec_b32 s1, vcc_lo
; %bb.635:
	v_mov_b64_e32 v[2:3], v[4:5]
	v_mov_b32_e32 v6, v1
; %bb.636:
	s_or_b32 exec_lo, exec_lo, s1
                                        ; implicit-def: $vgpr4_vgpr5
.LBB28_637:
	s_and_not1_saveexec_b32 s0, s0
; %bb.638:
	s_delay_alu instid0(VALU_DEP_2) | instskip(SKIP_1) | instid1(VALU_DEP_4)
	v_cmp_lt_f32_e32 vcc_lo, v3, v5
	v_dual_mov_b32 v6, 1 :: v_dual_cndmask_b32 v3, v3, v5
	v_cmp_lt_f32_e32 vcc_lo, v4, v2
	v_cndmask_b32_e32 v2, v2, v4, vcc_lo
; %bb.639:
	s_or_b32 exec_lo, exec_lo, s0
	s_delay_alu instid0(VALU_DEP_3) | instskip(SKIP_1) | instid1(VALU_DEP_2)
	v_mov_b32_dpp v1, v6 row_ror:4 row_mask:0xf bank_mask:0xf
	v_mov_b32_dpp v5, v3 row_ror:4 row_mask:0xf bank_mask:0xf
	v_and_b32_e32 v4, v1, v6
	v_and_b32_e32 v1, 1, v1
	s_delay_alu instid0(VALU_DEP_2) | instskip(SKIP_1) | instid1(VALU_DEP_3)
	v_and_b32_e32 v7, 1, v4
	v_mov_b32_dpp v4, v2 row_ror:4 row_mask:0xf bank_mask:0xf
	v_cmp_ne_u32_e32 vcc_lo, 1, v1
                                        ; implicit-def: $vgpr1
	s_delay_alu instid0(VALU_DEP_3) | instskip(SKIP_1) | instid1(SALU_CYCLE_1)
	v_cmp_ne_u32_e64 s0, 1, v7
	s_and_saveexec_b32 s1, s0
	s_xor_b32 s0, exec_lo, s1
	s_cbranch_execz .LBB28_643
; %bb.640:
	v_mov_b32_e32 v1, 1
	s_and_saveexec_b32 s1, vcc_lo
; %bb.641:
	v_mov_b64_e32 v[4:5], v[2:3]
	v_mov_b32_e32 v1, v6
; %bb.642:
	s_or_b32 exec_lo, exec_lo, s1
                                        ; implicit-def: $vgpr2_vgpr3
.LBB28_643:
	s_and_not1_saveexec_b32 s0, s0
; %bb.644:
	s_delay_alu instid0(VALU_DEP_2) | instskip(SKIP_1) | instid1(VALU_DEP_4)
	v_cmp_lt_f32_e32 vcc_lo, v5, v3
	v_dual_mov_b32 v1, 1 :: v_dual_cndmask_b32 v5, v5, v3, vcc_lo
	v_cmp_lt_f32_e32 vcc_lo, v2, v4
	v_cndmask_b32_e32 v4, v4, v2, vcc_lo
; %bb.645:
	s_or_b32 exec_lo, exec_lo, s0
	s_delay_alu instid0(VALU_DEP_3) | instskip(NEXT) | instid1(VALU_DEP_1)
	v_mov_b32_dpp v2, v1 row_ror:8 row_mask:0xf bank_mask:0xf
	v_and_b32_e32 v3, v2, v1
	v_and_b32_e32 v6, 1, v2
	v_mov_b32_dpp v2, v4 row_ror:8 row_mask:0xf bank_mask:0xf
	s_delay_alu instid0(VALU_DEP_3) | instskip(SKIP_1) | instid1(VALU_DEP_4)
	v_and_b32_e32 v7, 1, v3
	v_mov_b32_dpp v3, v5 row_ror:8 row_mask:0xf bank_mask:0xf
	v_cmp_ne_u32_e32 vcc_lo, 1, v6
                                        ; implicit-def: $vgpr6
	s_delay_alu instid0(VALU_DEP_3) | instskip(SKIP_1) | instid1(SALU_CYCLE_1)
	v_cmp_ne_u32_e64 s0, 1, v7
	s_and_saveexec_b32 s1, s0
	s_xor_b32 s0, exec_lo, s1
	s_cbranch_execz .LBB28_649
; %bb.646:
	v_mov_b32_e32 v6, 1
	s_and_saveexec_b32 s1, vcc_lo
; %bb.647:
	v_mov_b64_e32 v[2:3], v[4:5]
	v_mov_b32_e32 v6, v1
; %bb.648:
	s_or_b32 exec_lo, exec_lo, s1
                                        ; implicit-def: $vgpr4_vgpr5
.LBB28_649:
	s_and_not1_saveexec_b32 s0, s0
; %bb.650:
	s_delay_alu instid0(VALU_DEP_2) | instskip(SKIP_1) | instid1(VALU_DEP_4)
	v_cmp_lt_f32_e32 vcc_lo, v3, v5
	v_dual_mov_b32 v6, 1 :: v_dual_cndmask_b32 v3, v3, v5
	v_cmp_lt_f32_e32 vcc_lo, v4, v2
	v_cndmask_b32_e32 v2, v2, v4, vcc_lo
; %bb.651:
	s_or_b32 exec_lo, exec_lo, s0
	ds_swizzle_b32 v1, v6 offset:swizzle(BROADCAST,32,15)
	ds_swizzle_b32 v4, v2 offset:swizzle(BROADCAST,32,15)
	;; [unrolled: 1-line block ×3, first 2 shown]
	s_wait_dscnt 0x2
	v_and_b32_e32 v7, v1, v6
	v_and_b32_e32 v1, 1, v1
	s_delay_alu instid0(VALU_DEP_2) | instskip(NEXT) | instid1(VALU_DEP_2)
	v_and_b32_e32 v7, 1, v7
	v_cmp_ne_u32_e32 vcc_lo, 1, v1
                                        ; implicit-def: $vgpr1
	s_delay_alu instid0(VALU_DEP_2) | instskip(SKIP_1) | instid1(SALU_CYCLE_1)
	v_cmp_ne_u32_e64 s0, 1, v7
	s_and_saveexec_b32 s1, s0
	s_xor_b32 s0, exec_lo, s1
	s_cbranch_execz .LBB28_655
; %bb.652:
	v_mov_b32_e32 v1, 1
	s_and_saveexec_b32 s1, vcc_lo
	s_cbranch_execz .LBB28_654
; %bb.653:
	s_wait_dscnt 0x0
	v_mov_b64_e32 v[4:5], v[2:3]
	v_mov_b32_e32 v1, v6
.LBB28_654:
	s_or_b32 exec_lo, exec_lo, s1
                                        ; implicit-def: $vgpr2_vgpr3
.LBB28_655:
	s_and_not1_saveexec_b32 s0, s0
	s_cbranch_execz .LBB28_657
; %bb.656:
	s_wait_dscnt 0x0
	s_delay_alu instid0(VALU_DEP_2)
	v_cmp_lt_f32_e32 vcc_lo, v5, v3
	v_dual_mov_b32 v1, 1 :: v_dual_cndmask_b32 v5, v5, v3, vcc_lo
	v_cmp_lt_f32_e32 vcc_lo, v2, v4
	v_cndmask_b32_e32 v4, v4, v2, vcc_lo
.LBB28_657:
	s_or_b32 exec_lo, exec_lo, s0
	v_mov_b32_e32 v3, 0
	v_mbcnt_lo_u32_b32 v6, -1, 0
	s_mov_b32 s0, exec_lo
	ds_bpermute_b32 v1, v3, v1 offset:124
	s_wait_dscnt 0x2
	ds_bpermute_b32 v2, v3, v4 offset:124
	s_wait_dscnt 0x2
	ds_bpermute_b32 v3, v3, v5 offset:124
	v_cmpx_eq_u32_e32 0, v6
	s_cbranch_execz .LBB28_659
; %bb.658:
	v_lshrrev_b32_e32 v4, 5, v0
	s_delay_alu instid0(VALU_DEP_1)
	v_mul_u32_u24_e32 v4, 12, v4
	s_wait_dscnt 0x2
	ds_store_b8 v4, v1 offset:192
	s_wait_dscnt 0x1
	ds_store_2addr_b32 v4, v2, v3 offset0:49 offset1:50
.LBB28_659:
	s_or_b32 exec_lo, exec_lo, s0
	s_delay_alu instid0(SALU_CYCLE_1)
	s_mov_b32 s0, exec_lo
	s_wait_dscnt 0x0
	s_barrier_signal -1
	s_barrier_wait -1
	v_cmpx_gt_u32_e32 32, v0
	s_cbranch_execz .LBB28_673
; %bb.660:
	v_and_b32_e32 v1, 3, v6
	s_mov_b32 s1, exec_lo
	s_delay_alu instid0(VALU_DEP_1)
	v_mul_u32_u24_e32 v2, 12, v1
	v_cmp_ne_u32_e32 vcc_lo, 3, v1
	ds_load_u8 v8, v2 offset:192
	v_add_co_ci_u32_e64 v1, null, 0, v6, vcc_lo
	ds_load_2addr_b32 v[2:3], v2 offset0:49 offset1:50
	v_lshlrev_b32_e32 v5, 2, v1
	s_wait_dscnt 0x1
	v_and_b32_e32 v4, 0xff, v8
	ds_bpermute_b32 v1, v5, v4
	s_wait_dscnt 0x0
	v_and_b32_e32 v7, v8, v1
	ds_bpermute_b32 v4, v5, v2
	ds_bpermute_b32 v5, v5, v3
	v_and_b32_e32 v7, 1, v7
	s_delay_alu instid0(VALU_DEP_1)
	v_cmpx_eq_u32_e32 1, v7
	s_xor_b32 s1, exec_lo, s1
	s_cbranch_execz .LBB28_662
; %bb.661:
	s_wait_dscnt 0x0
	v_cmp_gt_f32_e32 vcc_lo, v5, v3
                                        ; implicit-def: $vgpr1
                                        ; implicit-def: $vgpr8
	v_cndmask_b32_e32 v5, v3, v5, vcc_lo
	v_cmp_gt_f32_e32 vcc_lo, v2, v4
	v_cndmask_b32_e32 v4, v2, v4, vcc_lo
                                        ; implicit-def: $vgpr2_vgpr3
.LBB28_662:
	s_or_saveexec_b32 s1, s1
	v_dual_mov_b32 v7, 1 :: v_dual_lshlrev_b32 v6, 2, v6
	s_xor_b32 exec_lo, exec_lo, s1
	s_cbranch_execz .LBB28_666
; %bb.663:
	v_and_b32_e32 v7, 1, v8
	s_mov_b32 s5, exec_lo
	s_delay_alu instid0(VALU_DEP_1)
	v_cmpx_eq_u32_e32 1, v7
	s_cbranch_execz .LBB28_665
; %bb.664:
	s_wait_dscnt 0x0
	v_mov_b64_e32 v[4:5], v[2:3]
	v_mov_b32_e32 v1, 1
.LBB28_665:
	s_or_b32 exec_lo, exec_lo, s5
	s_delay_alu instid0(VALU_DEP_1)
	v_mov_b32_e32 v7, v1
.LBB28_666:
	s_or_b32 exec_lo, exec_lo, s1
	s_delay_alu instid0(VALU_DEP_1)
	v_and_b32_e32 v1, 0xff, v7
	v_or_b32_e32 v3, 8, v6
	s_mov_b32 s1, exec_lo
	ds_bpermute_b32 v6, v3, v1
	s_wait_dscnt 0x2
	ds_bpermute_b32 v2, v3, v4
	s_wait_dscnt 0x2
	ds_bpermute_b32 v3, v3, v5
	s_wait_dscnt 0x2
	v_and_b32_e32 v1, v7, v6
	s_delay_alu instid0(VALU_DEP_1) | instskip(NEXT) | instid1(VALU_DEP_1)
	v_and_b32_e32 v1, 1, v1
	v_cmpx_eq_u32_e32 1, v1
	s_xor_b32 s1, exec_lo, s1
	s_cbranch_execz .LBB28_668
; %bb.667:
	s_wait_dscnt 0x0
	v_cmp_gt_f32_e32 vcc_lo, v3, v5
                                        ; implicit-def: $vgpr6
                                        ; implicit-def: $vgpr7
	v_cndmask_b32_e32 v3, v5, v3, vcc_lo
	v_cmp_gt_f32_e32 vcc_lo, v4, v2
	v_cndmask_b32_e32 v2, v4, v2, vcc_lo
                                        ; implicit-def: $vgpr4_vgpr5
.LBB28_668:
	s_or_saveexec_b32 s1, s1
	v_mov_b32_e32 v1, 1
	s_xor_b32 exec_lo, exec_lo, s1
	s_cbranch_execz .LBB28_672
; %bb.669:
	v_and_b32_e32 v1, 1, v7
	s_mov_b32 s5, exec_lo
	s_delay_alu instid0(VALU_DEP_1)
	v_cmpx_eq_u32_e32 1, v1
	s_cbranch_execz .LBB28_671
; %bb.670:
	s_wait_dscnt 0x0
	v_mov_b64_e32 v[2:3], v[4:5]
	v_mov_b32_e32 v6, 1
.LBB28_671:
	s_or_b32 exec_lo, exec_lo, s5
	s_delay_alu instid0(VALU_DEP_1)
	v_mov_b32_e32 v1, v6
.LBB28_672:
	s_or_b32 exec_lo, exec_lo, s1
.LBB28_673:
	s_delay_alu instid0(SALU_CYCLE_1)
	s_or_b32 exec_lo, exec_lo, s0
	s_branch .LBB28_770
.LBB28_674:
                                        ; implicit-def: $vgpr4_vgpr5
                                        ; implicit-def: $vgpr6
                                        ; implicit-def: $sgpr26_sgpr27
.LBB28_675:
	s_branch .LBB28_970
.LBB28_676:
                                        ; implicit-def: $vgpr2_vgpr3
                                        ; implicit-def: $vgpr1
	s_cbranch_execz .LBB28_770
; %bb.677:
	s_wait_dscnt 0x0
	v_dual_mov_b32 v1, 0 :: v_dual_mov_b32 v5, 0
	v_mov_b32_e32 v2, 0
	s_sub_co_i32 s4, s20, s4
	s_mov_b32 s0, exec_lo
	v_cmpx_gt_u32_e64 s4, v0
	s_cbranch_execz .LBB28_679
; %bb.678:
	global_load_b32 v2, v0, s[2:3] scale_offset
	s_abs_i32 s1, s19
	s_delay_alu instid0(SALU_CYCLE_1) | instskip(SKIP_1) | instid1(SALU_CYCLE_2)
	s_cvt_f32_u32 s5, s1
	s_sub_co_i32 s6, 0, s1
	v_rcp_iflag_f32_e32 v1, s5
	v_nop
	s_delay_alu instid0(TRANS32_DEP_1) | instskip(SKIP_2) | instid1(VALU_DEP_1)
	v_readfirstlane_b32 s5, v1
	v_add_nc_u32_e32 v1, s9, v0
	s_mul_f32 s5, s5, 0x4f7ffffe
	v_sub_nc_u32_e32 v3, 0, v1
	s_delay_alu instid0(SALU_CYCLE_2) | instskip(NEXT) | instid1(VALU_DEP_1)
	s_cvt_u32_f32 s5, s5
	v_dual_ashrrev_i32 v1, 31, v1 :: v_dual_max_i32 v3, v1, v3
	s_delay_alu instid0(SALU_CYCLE_2) | instskip(NEXT) | instid1(SALU_CYCLE_1)
	s_mul_i32 s6, s6, s5
	s_mul_hi_u32 s6, s5, s6
	s_delay_alu instid0(SALU_CYCLE_1)
	s_add_co_i32 s5, s5, s6
	s_delay_alu instid0(VALU_DEP_1) | instid1(SALU_CYCLE_1)
	v_mul_hi_u32 v4, v3, s5
	s_delay_alu instid0(VALU_DEP_1) | instskip(NEXT) | instid1(VALU_DEP_1)
	v_mul_lo_u32 v4, v4, s1
	v_sub_nc_u32_e32 v3, v3, v4
	s_delay_alu instid0(VALU_DEP_1) | instskip(SKIP_1) | instid1(VALU_DEP_2)
	v_subrev_nc_u32_e32 v4, s1, v3
	v_cmp_le_u32_e32 vcc_lo, s1, v3
	v_cndmask_b32_e32 v3, v3, v4, vcc_lo
	s_delay_alu instid0(VALU_DEP_1) | instskip(SKIP_1) | instid1(VALU_DEP_2)
	v_subrev_nc_u32_e32 v4, s1, v3
	v_cmp_le_u32_e32 vcc_lo, s1, v3
	v_cndmask_b32_e32 v3, v3, v4, vcc_lo
	s_delay_alu instid0(VALU_DEP_1) | instskip(NEXT) | instid1(VALU_DEP_1)
	v_xor_b32_e32 v3, v3, v1
	v_sub_nc_u32_e32 v1, v3, v1
	s_delay_alu instid0(VALU_DEP_1)
	v_cmp_gt_i32_e32 vcc_lo, s18, v1
	v_cndmask_b32_e64 v1, 0, 1, vcc_lo
.LBB28_679:
	s_wait_xcnt 0x0
	s_or_b32 exec_lo, exec_lo, s0
	v_or_b32_e32 v3, 0x80, v0
	v_mov_b32_e32 v7, 0
	s_delay_alu instid0(VALU_DEP_2)
	v_cmp_gt_u32_e64 s1, s4, v3
	s_and_saveexec_b32 s0, s1
	s_cbranch_execz .LBB28_681
; %bb.680:
	global_load_b32 v5, v0, s[2:3] offset:512 scale_offset
	s_abs_i32 s5, s19
	v_add_nc_u32_e32 v3, s9, v3
	s_cvt_f32_u32 s6, s5
	s_sub_co_i32 s7, 0, s5
	s_delay_alu instid0(SALU_CYCLE_2) | instskip(SKIP_1) | instid1(TRANS32_DEP_1)
	v_rcp_iflag_f32_e32 v4, s6
	v_nop
	v_readfirstlane_b32 s6, v4
	v_sub_nc_u32_e32 v4, 0, v3
	s_mul_f32 s6, s6, 0x4f7ffffe
	s_delay_alu instid0(VALU_DEP_1) | instskip(NEXT) | instid1(SALU_CYCLE_2)
	v_max_i32_e32 v4, v3, v4
	s_cvt_u32_f32 s6, s6
	s_delay_alu instid0(SALU_CYCLE_3) | instskip(NEXT) | instid1(SALU_CYCLE_1)
	s_mul_i32 s7, s7, s6
	s_mul_hi_u32 s7, s6, s7
	s_delay_alu instid0(SALU_CYCLE_1) | instskip(NEXT) | instid1(SALU_CYCLE_1)
	s_add_co_i32 s6, s6, s7
	v_mul_hi_u32 v6, v4, s6
	s_delay_alu instid0(VALU_DEP_1) | instskip(NEXT) | instid1(VALU_DEP_1)
	v_mul_lo_u32 v6, v6, s5
	v_dual_sub_nc_u32 v4, v4, v6 :: v_dual_ashrrev_i32 v3, 31, v3
	s_delay_alu instid0(VALU_DEP_1) | instskip(SKIP_1) | instid1(VALU_DEP_2)
	v_subrev_nc_u32_e32 v6, s5, v4
	v_cmp_le_u32_e32 vcc_lo, s5, v4
	v_cndmask_b32_e32 v4, v4, v6, vcc_lo
	s_delay_alu instid0(VALU_DEP_1) | instskip(SKIP_1) | instid1(VALU_DEP_2)
	v_subrev_nc_u32_e32 v6, s5, v4
	v_cmp_le_u32_e32 vcc_lo, s5, v4
	v_cndmask_b32_e32 v4, v4, v6, vcc_lo
	s_delay_alu instid0(VALU_DEP_1) | instskip(NEXT) | instid1(VALU_DEP_1)
	v_xor_b32_e32 v4, v4, v3
	v_sub_nc_u32_e32 v3, v4, v3
	s_delay_alu instid0(VALU_DEP_1)
	v_cmp_gt_i32_e32 vcc_lo, s18, v3
	v_cndmask_b32_e64 v7, 0, 1, vcc_lo
.LBB28_681:
	s_wait_xcnt 0x0
	s_or_b32 exec_lo, exec_lo, s0
	v_or_b32_e32 v3, 0x100, v0
	v_dual_mov_b32 v9, 0 :: v_dual_mov_b32 v8, 0
	v_mov_b32_e32 v6, 0
	s_delay_alu instid0(VALU_DEP_3)
	v_cmp_gt_u32_e64 s0, s4, v3
	s_and_saveexec_b32 s5, s0
	s_cbranch_execz .LBB28_683
; %bb.682:
	global_load_b32 v6, v0, s[2:3] offset:1024 scale_offset
	s_abs_i32 s6, s19
	v_add_nc_u32_e32 v3, s9, v3
	s_cvt_f32_u32 s7, s6
	s_sub_co_i32 s10, 0, s6
	s_delay_alu instid0(SALU_CYCLE_2) | instskip(SKIP_1) | instid1(TRANS32_DEP_1)
	v_rcp_iflag_f32_e32 v4, s7
	v_nop
	v_readfirstlane_b32 s7, v4
	v_sub_nc_u32_e32 v4, 0, v3
	s_mul_f32 s7, s7, 0x4f7ffffe
	s_delay_alu instid0(VALU_DEP_1) | instskip(NEXT) | instid1(SALU_CYCLE_2)
	v_max_i32_e32 v4, v3, v4
	s_cvt_u32_f32 s7, s7
	s_delay_alu instid0(SALU_CYCLE_3) | instskip(NEXT) | instid1(SALU_CYCLE_1)
	s_mul_i32 s10, s10, s7
	s_mul_hi_u32 s10, s7, s10
	s_delay_alu instid0(SALU_CYCLE_1) | instskip(NEXT) | instid1(SALU_CYCLE_1)
	s_add_co_i32 s7, s7, s10
	v_mul_hi_u32 v9, v4, s7
	s_delay_alu instid0(VALU_DEP_1) | instskip(NEXT) | instid1(VALU_DEP_1)
	v_mul_lo_u32 v9, v9, s6
	v_dual_sub_nc_u32 v4, v4, v9 :: v_dual_ashrrev_i32 v3, 31, v3
	s_delay_alu instid0(VALU_DEP_1) | instskip(SKIP_1) | instid1(VALU_DEP_2)
	v_subrev_nc_u32_e32 v9, s6, v4
	v_cmp_le_u32_e32 vcc_lo, s6, v4
	v_cndmask_b32_e32 v4, v4, v9, vcc_lo
	s_delay_alu instid0(VALU_DEP_1) | instskip(SKIP_1) | instid1(VALU_DEP_2)
	v_subrev_nc_u32_e32 v9, s6, v4
	v_cmp_le_u32_e32 vcc_lo, s6, v4
	v_cndmask_b32_e32 v4, v4, v9, vcc_lo
	s_delay_alu instid0(VALU_DEP_1) | instskip(NEXT) | instid1(VALU_DEP_1)
	v_xor_b32_e32 v4, v4, v3
	v_sub_nc_u32_e32 v3, v4, v3
	s_delay_alu instid0(VALU_DEP_1)
	v_cmp_gt_i32_e32 vcc_lo, s18, v3
	v_cndmask_b32_e64 v9, 0, 1, vcc_lo
.LBB28_683:
	s_wait_xcnt 0x0
	s_or_b32 exec_lo, exec_lo, s5
	v_or_b32_e32 v3, 0x180, v0
	v_mov_b32_e32 v4, 0
	s_delay_alu instid0(VALU_DEP_2)
	v_cmp_gt_u32_e32 vcc_lo, s4, v3
	s_and_saveexec_b32 s5, vcc_lo
	s_cbranch_execnz .LBB28_687
; %bb.684:
	s_or_b32 exec_lo, exec_lo, s5
	s_wait_loadcnt 0x0
	v_mov_b32_e32 v3, v2
	s_and_saveexec_b32 s3, s1
	s_cbranch_execnz .LBB28_688
.LBB28_685:
	s_or_b32 exec_lo, exec_lo, s3
	s_and_saveexec_b32 s2, s0
	s_cbranch_execnz .LBB28_695
.LBB28_686:
	s_or_b32 exec_lo, exec_lo, s2
	s_and_saveexec_b32 s1, vcc_lo
	s_cbranch_execnz .LBB28_702
	s_branch .LBB28_709
.LBB28_687:
	global_load_b32 v4, v0, s[2:3] offset:1536 scale_offset
	s_wait_xcnt 0x0
	s_abs_i32 s3, s19
	v_add_nc_u32_e32 v3, s9, v3
	s_cvt_f32_u32 s2, s3
	s_sub_co_i32 s6, 0, s3
	s_delay_alu instid0(SALU_CYCLE_2) | instskip(SKIP_1) | instid1(TRANS32_DEP_1)
	v_rcp_iflag_f32_e32 v8, s2
	v_nop
	v_readfirstlane_b32 s2, v8
	v_sub_nc_u32_e32 v8, 0, v3
	s_mul_f32 s2, s2, 0x4f7ffffe
	s_delay_alu instid0(VALU_DEP_1) | instskip(NEXT) | instid1(SALU_CYCLE_2)
	v_max_i32_e32 v8, v3, v8
	s_cvt_u32_f32 s2, s2
	s_delay_alu instid0(SALU_CYCLE_3) | instskip(NEXT) | instid1(SALU_CYCLE_1)
	s_mul_i32 s6, s6, s2
	s_mul_hi_u32 s6, s2, s6
	s_delay_alu instid0(SALU_CYCLE_1) | instskip(NEXT) | instid1(SALU_CYCLE_1)
	s_add_co_i32 s2, s2, s6
	v_mul_hi_u32 v10, v8, s2
	s_delay_alu instid0(VALU_DEP_1) | instskip(NEXT) | instid1(VALU_DEP_1)
	v_mul_lo_u32 v10, v10, s3
	v_dual_sub_nc_u32 v8, v8, v10 :: v_dual_ashrrev_i32 v3, 31, v3
	s_delay_alu instid0(VALU_DEP_1) | instskip(SKIP_1) | instid1(VALU_DEP_1)
	v_subrev_nc_u32_e32 v10, s3, v8
	v_cmp_le_u32_e64 s2, s3, v8
	v_cndmask_b32_e64 v8, v8, v10, s2
	s_delay_alu instid0(VALU_DEP_1) | instskip(SKIP_1) | instid1(VALU_DEP_1)
	v_subrev_nc_u32_e32 v10, s3, v8
	v_cmp_le_u32_e64 s2, s3, v8
	v_cndmask_b32_e64 v8, v8, v10, s2
	s_delay_alu instid0(VALU_DEP_1) | instskip(NEXT) | instid1(VALU_DEP_1)
	v_xor_b32_e32 v8, v8, v3
	v_sub_nc_u32_e32 v3, v8, v3
	s_delay_alu instid0(VALU_DEP_1) | instskip(NEXT) | instid1(VALU_DEP_1)
	v_cmp_gt_i32_e64 s2, s18, v3
	v_cndmask_b32_e64 v8, 0, 1, s2
	s_or_b32 exec_lo, exec_lo, s5
	s_wait_loadcnt 0x1
	v_mov_b32_e32 v3, v2
	s_and_saveexec_b32 s3, s1
	s_cbranch_execz .LBB28_685
.LBB28_688:
	v_and_b32_e32 v1, 1, v1
	v_and_b32_e32 v3, 1, v7
	s_delay_alu instid0(VALU_DEP_2) | instskip(NEXT) | instid1(VALU_DEP_2)
	v_cmp_eq_u32_e64 s1, 1, v1
	v_cmp_eq_u32_e64 s2, 1, v3
                                        ; implicit-def: $vgpr1
	s_and_b32 s2, s1, s2
	s_delay_alu instid0(SALU_CYCLE_1) | instskip(NEXT) | instid1(SALU_CYCLE_1)
	s_xor_b32 s2, s2, -1
	s_and_saveexec_b32 s5, s2
	s_delay_alu instid0(SALU_CYCLE_1)
	s_xor_b32 s2, exec_lo, s5
	s_cbranch_execz .LBB28_692
; %bb.689:
	v_mov_b32_e32 v1, 1
	s_xor_b32 s5, s1, -1
	s_delay_alu instid0(SALU_CYCLE_1)
	s_and_saveexec_b32 s1, s5
; %bb.690:
	v_and_b32_e32 v1, 0xffff, v7
	v_mov_b32_e32 v2, v5
; %bb.691:
	s_or_b32 exec_lo, exec_lo, s1
                                        ; implicit-def: $vgpr5
.LBB28_692:
	s_or_saveexec_b32 s2, s2
	s_delay_alu instid0(VALU_DEP_1)
	v_mov_b32_e32 v7, v2
	s_xor_b32 exec_lo, exec_lo, s2
; %bb.693:
	v_cmp_lt_f32_e64 s1, v5, v2
	s_delay_alu instid0(VALU_DEP_1) | instskip(SKIP_1) | instid1(VALU_DEP_1)
	v_dual_mov_b32 v1, 1 :: v_dual_cndmask_b32 v7, v2, v5, s1
	v_cmp_lt_f32_e64 s1, v2, v5
	v_cndmask_b32_e64 v2, v2, v5, s1
; %bb.694:
	s_or_b32 exec_lo, exec_lo, s2
	s_delay_alu instid0(VALU_DEP_1)
	v_dual_mov_b32 v3, v2 :: v_dual_mov_b32 v2, v7
	s_or_b32 exec_lo, exec_lo, s3
	s_and_saveexec_b32 s2, s0
	s_cbranch_execz .LBB28_686
.LBB28_695:
	v_and_b32_e32 v1, 1, v1
	v_and_b32_e32 v5, 1, v9
	s_delay_alu instid0(VALU_DEP_2) | instskip(NEXT) | instid1(VALU_DEP_2)
	v_cmp_eq_u32_e64 s0, 1, v1
	v_cmp_eq_u32_e64 s1, 1, v5
                                        ; implicit-def: $vgpr1
	s_and_b32 s1, s0, s1
	s_delay_alu instid0(SALU_CYCLE_1) | instskip(NEXT) | instid1(SALU_CYCLE_1)
	s_xor_b32 s1, s1, -1
	s_and_saveexec_b32 s3, s1
	s_delay_alu instid0(SALU_CYCLE_1)
	s_xor_b32 s1, exec_lo, s3
	s_cbranch_execz .LBB28_699
; %bb.696:
	v_mov_b32_e32 v1, 1
	s_xor_b32 s3, s0, -1
	s_delay_alu instid0(SALU_CYCLE_1)
	s_and_saveexec_b32 s0, s3
; %bb.697:
	v_mov_b32_e32 v7, v6
	v_and_b32_e32 v1, 0xffff, v9
	s_delay_alu instid0(VALU_DEP_2)
	v_mov_b64_e32 v[2:3], v[6:7]
; %bb.698:
	s_or_b32 exec_lo, exec_lo, s0
                                        ; implicit-def: $vgpr6
.LBB28_699:
	s_and_not1_saveexec_b32 s1, s1
; %bb.700:
	s_delay_alu instid0(VALU_DEP_1) | instskip(NEXT) | instid1(VALU_DEP_1)
	v_cmp_lt_f32_e64 s0, v6, v2
	v_dual_mov_b32 v1, 1 :: v_dual_cndmask_b32 v2, v2, v6, s0
	s_delay_alu instid0(VALU_DEP_3) | instskip(NEXT) | instid1(VALU_DEP_1)
	v_cmp_lt_f32_e64 s0, v3, v6
	v_cndmask_b32_e64 v3, v3, v6, s0
; %bb.701:
	s_or_b32 exec_lo, exec_lo, s1
	s_delay_alu instid0(SALU_CYCLE_1)
	s_or_b32 exec_lo, exec_lo, s2
	s_and_saveexec_b32 s1, vcc_lo
	s_cbranch_execz .LBB28_709
.LBB28_702:
	v_and_b32_e32 v1, 1, v1
	v_and_b32_e32 v5, 1, v8
	s_delay_alu instid0(VALU_DEP_2) | instskip(NEXT) | instid1(VALU_DEP_2)
	v_cmp_eq_u32_e32 vcc_lo, 1, v1
	v_cmp_eq_u32_e64 s0, 1, v5
                                        ; implicit-def: $vgpr1
	s_and_b32 s0, vcc_lo, s0
	s_delay_alu instid0(SALU_CYCLE_1) | instskip(NEXT) | instid1(SALU_CYCLE_1)
	s_xor_b32 s0, s0, -1
	s_and_saveexec_b32 s2, s0
	s_delay_alu instid0(SALU_CYCLE_1)
	s_xor_b32 s0, exec_lo, s2
	s_cbranch_execz .LBB28_706
; %bb.703:
	v_mov_b32_e32 v1, 1
	s_xor_b32 s3, vcc_lo, -1
	s_delay_alu instid0(SALU_CYCLE_1)
	s_and_saveexec_b32 s2, s3
	s_cbranch_execz .LBB28_705
; %bb.704:
	s_wait_loadcnt 0x0
	v_mov_b32_e32 v5, v4
	v_and_b32_e32 v1, 0xffff, v8
	s_delay_alu instid0(VALU_DEP_2)
	v_mov_b64_e32 v[2:3], v[4:5]
.LBB28_705:
	s_or_b32 exec_lo, exec_lo, s2
                                        ; implicit-def: $vgpr4
.LBB28_706:
	s_and_not1_saveexec_b32 s0, s0
	s_cbranch_execz .LBB28_708
; %bb.707:
	s_wait_loadcnt 0x0
	s_delay_alu instid0(VALU_DEP_1)
	v_cmp_lt_f32_e32 vcc_lo, v3, v4
	v_dual_mov_b32 v1, 1 :: v_dual_cndmask_b32 v3, v3, v4, vcc_lo
	v_cmp_lt_f32_e32 vcc_lo, v4, v2
	v_cndmask_b32_e32 v2, v2, v4, vcc_lo
.LBB28_708:
	s_or_b32 exec_lo, exec_lo, s0
.LBB28_709:
	s_delay_alu instid0(SALU_CYCLE_1) | instskip(SKIP_4) | instid1(VALU_DEP_3)
	s_or_b32 exec_lo, exec_lo, s1
	v_mbcnt_lo_u32_b32 v6, -1, 0
	v_and_b32_e32 v7, 0x60, v0
	s_min_u32 s0, s4, 0x80
	v_mov_b32_e32 v10, v3
	v_cmp_ne_u32_e32 vcc_lo, 31, v6
	v_add_nc_u32_e32 v9, 1, v6
	v_sub_nc_u32_e64 v7, s0, v7 clamp
	s_wait_loadcnt 0x0
	v_add_co_ci_u32_e64 v4, null, 0, v6, vcc_lo
	s_delay_alu instid0(VALU_DEP_2) | instskip(NEXT) | instid1(VALU_DEP_2)
	v_cmp_lt_u32_e32 vcc_lo, v9, v7
	v_dual_mov_b32 v9, v2 :: v_dual_lshlrev_b32 v5, 2, v4
	ds_bpermute_b32 v8, v5, v1
	ds_bpermute_b32 v4, v5, v2
	;; [unrolled: 1-line block ×3, first 2 shown]
	s_and_saveexec_b32 s1, vcc_lo
	s_delay_alu instid0(SALU_CYCLE_1)
	s_xor_b32 s1, exec_lo, s1
	s_cbranch_execz .LBB28_717
; %bb.710:
	s_wait_dscnt 0x2
	v_and_b32_e32 v9, v8, v1
	s_mov_b32 s2, exec_lo
	s_delay_alu instid0(VALU_DEP_1)
	v_cmpx_ne_u32_e32 0, v9
	s_xor_b32 s2, exec_lo, s2
	s_cbranch_execz .LBB28_712
; %bb.711:
	s_wait_dscnt 0x0
	v_cmp_lt_f32_e32 vcc_lo, v3, v5
                                        ; implicit-def: $vgpr8
                                        ; implicit-def: $vgpr1
	v_cndmask_b32_e32 v5, v3, v5, vcc_lo
	v_cmp_lt_f32_e32 vcc_lo, v4, v2
	v_cndmask_b32_e32 v4, v2, v4, vcc_lo
                                        ; implicit-def: $vgpr2_vgpr3
.LBB28_712:
	s_or_saveexec_b32 s2, s2
	v_mov_b32_e32 v9, 1
	s_xor_b32 exec_lo, exec_lo, s2
	s_cbranch_execz .LBB28_716
; %bb.713:
	v_and_b32_e32 v1, 1, v1
	s_mov_b32 s3, exec_lo
	s_delay_alu instid0(VALU_DEP_1)
	v_cmpx_eq_u32_e32 1, v1
	s_cbranch_execz .LBB28_715
; %bb.714:
	s_wait_dscnt 0x0
	v_mov_b64_e32 v[4:5], v[2:3]
	v_mov_b32_e32 v8, 1
.LBB28_715:
	s_or_b32 exec_lo, exec_lo, s3
	s_delay_alu instid0(VALU_DEP_1)
	v_mov_b32_e32 v9, v8
.LBB28_716:
	s_or_b32 exec_lo, exec_lo, s2
	s_wait_dscnt 0x0
	s_delay_alu instid0(VALU_DEP_3) | instskip(NEXT) | instid1(VALU_DEP_2)
	v_mov_b64_e32 v[2:3], v[4:5]
	v_and_b32_e32 v1, 0xff, v9
	v_dual_mov_b32 v9, v4 :: v_dual_mov_b32 v10, v5
.LBB28_717:
	s_or_b32 exec_lo, exec_lo, s1
	v_cmp_gt_u32_e32 vcc_lo, 30, v6
	v_add_nc_u32_e32 v11, 2, v6
	s_mov_b32 s1, exec_lo
	s_wait_dscnt 0x1
	v_cndmask_b32_e64 v4, 0, 2, vcc_lo
	s_wait_dscnt 0x0
	s_delay_alu instid0(VALU_DEP_1)
	v_add_lshl_u32 v5, v4, v6, 2
	ds_bpermute_b32 v8, v5, v1
	ds_bpermute_b32 v4, v5, v9
	ds_bpermute_b32 v5, v5, v10
	v_cmpx_lt_u32_e64 v11, v7
	s_cbranch_execz .LBB28_725
; %bb.718:
	s_wait_dscnt 0x2
	v_and_b32_e32 v9, v1, v8
	s_mov_b32 s2, exec_lo
	s_delay_alu instid0(VALU_DEP_1) | instskip(NEXT) | instid1(VALU_DEP_1)
	v_and_b32_e32 v9, 1, v9
	v_cmpx_eq_u32_e32 1, v9
	s_xor_b32 s2, exec_lo, s2
	s_cbranch_execz .LBB28_720
; %bb.719:
	s_wait_dscnt 0x0
	v_cmp_lt_f32_e32 vcc_lo, v3, v5
                                        ; implicit-def: $vgpr8
                                        ; implicit-def: $vgpr1
	v_cndmask_b32_e32 v5, v3, v5, vcc_lo
	v_cmp_lt_f32_e32 vcc_lo, v4, v2
	v_cndmask_b32_e32 v4, v2, v4, vcc_lo
                                        ; implicit-def: $vgpr2_vgpr3
.LBB28_720:
	s_or_saveexec_b32 s2, s2
	v_mov_b32_e32 v9, 1
	s_xor_b32 exec_lo, exec_lo, s2
	s_cbranch_execz .LBB28_724
; %bb.721:
	v_and_b32_e32 v1, 1, v1
	s_mov_b32 s3, exec_lo
	s_delay_alu instid0(VALU_DEP_1)
	v_cmpx_eq_u32_e32 1, v1
	s_cbranch_execz .LBB28_723
; %bb.722:
	s_wait_dscnt 0x0
	v_mov_b64_e32 v[4:5], v[2:3]
	v_mov_b32_e32 v8, 1
.LBB28_723:
	s_or_b32 exec_lo, exec_lo, s3
	s_delay_alu instid0(VALU_DEP_1)
	v_mov_b32_e32 v9, v8
.LBB28_724:
	s_or_b32 exec_lo, exec_lo, s2
	s_wait_dscnt 0x0
	s_delay_alu instid0(VALU_DEP_3) | instskip(NEXT) | instid1(VALU_DEP_2)
	v_mov_b64_e32 v[2:3], v[4:5]
	v_and_b32_e32 v1, 0xff, v9
	v_dual_mov_b32 v9, v4 :: v_dual_mov_b32 v10, v5
.LBB28_725:
	s_or_b32 exec_lo, exec_lo, s1
	v_cmp_gt_u32_e32 vcc_lo, 28, v6
	v_add_nc_u32_e32 v11, 4, v6
	s_mov_b32 s1, exec_lo
	s_wait_dscnt 0x1
	v_cndmask_b32_e64 v4, 0, 4, vcc_lo
	s_wait_dscnt 0x0
	s_delay_alu instid0(VALU_DEP_1)
	v_add_lshl_u32 v5, v4, v6, 2
	ds_bpermute_b32 v8, v5, v1
	ds_bpermute_b32 v4, v5, v9
	;; [unrolled: 1-line block ×3, first 2 shown]
	v_cmpx_lt_u32_e64 v11, v7
	s_cbranch_execz .LBB28_733
; %bb.726:
	s_wait_dscnt 0x2
	v_and_b32_e32 v9, v1, v8
	s_mov_b32 s2, exec_lo
	s_delay_alu instid0(VALU_DEP_1) | instskip(NEXT) | instid1(VALU_DEP_1)
	v_and_b32_e32 v9, 1, v9
	v_cmpx_eq_u32_e32 1, v9
	s_xor_b32 s2, exec_lo, s2
	s_cbranch_execz .LBB28_728
; %bb.727:
	s_wait_dscnt 0x1
	v_cmp_gt_f32_e32 vcc_lo, v2, v4
                                        ; implicit-def: $vgpr8
                                        ; implicit-def: $vgpr1
	v_cndmask_b32_e32 v4, v2, v4, vcc_lo
	s_wait_dscnt 0x0
	v_cmp_lt_f32_e32 vcc_lo, v3, v5
	v_cndmask_b32_e32 v5, v3, v5, vcc_lo
                                        ; implicit-def: $vgpr2_vgpr3
.LBB28_728:
	s_or_saveexec_b32 s2, s2
	v_mov_b32_e32 v9, 1
	s_xor_b32 exec_lo, exec_lo, s2
	s_cbranch_execz .LBB28_732
; %bb.729:
	v_and_b32_e32 v1, 1, v1
	s_mov_b32 s3, exec_lo
	s_delay_alu instid0(VALU_DEP_1)
	v_cmpx_eq_u32_e32 1, v1
	s_cbranch_execz .LBB28_731
; %bb.730:
	s_wait_dscnt 0x0
	v_mov_b64_e32 v[4:5], v[2:3]
	v_mov_b32_e32 v8, 1
.LBB28_731:
	s_or_b32 exec_lo, exec_lo, s3
	s_delay_alu instid0(VALU_DEP_1)
	v_mov_b32_e32 v9, v8
.LBB28_732:
	s_or_b32 exec_lo, exec_lo, s2
	s_wait_dscnt 0x0
	s_delay_alu instid0(VALU_DEP_3) | instskip(NEXT) | instid1(VALU_DEP_2)
	v_mov_b64_e32 v[2:3], v[4:5]
	v_and_b32_e32 v1, 0xff, v9
	v_dual_mov_b32 v9, v4 :: v_dual_mov_b32 v10, v5
.LBB28_733:
	s_or_b32 exec_lo, exec_lo, s1
	v_cmp_gt_u32_e32 vcc_lo, 24, v6
	v_add_nc_u32_e32 v11, 8, v6
	s_mov_b32 s1, exec_lo
	s_wait_dscnt 0x1
	v_cndmask_b32_e64 v4, 0, 8, vcc_lo
	s_wait_dscnt 0x0
	s_delay_alu instid0(VALU_DEP_1)
	v_add_lshl_u32 v5, v4, v6, 2
	ds_bpermute_b32 v8, v5, v1
	ds_bpermute_b32 v4, v5, v9
	;; [unrolled: 1-line block ×3, first 2 shown]
	v_cmpx_lt_u32_e64 v11, v7
	s_cbranch_execz .LBB28_741
; %bb.734:
	s_wait_dscnt 0x2
	v_and_b32_e32 v9, v1, v8
	s_mov_b32 s2, exec_lo
	s_delay_alu instid0(VALU_DEP_1) | instskip(NEXT) | instid1(VALU_DEP_1)
	v_and_b32_e32 v9, 1, v9
	v_cmpx_eq_u32_e32 1, v9
	s_xor_b32 s2, exec_lo, s2
	s_cbranch_execz .LBB28_736
; %bb.735:
	s_wait_dscnt 0x0
	v_cmp_gt_f32_e32 vcc_lo, v5, v3
                                        ; implicit-def: $vgpr8
                                        ; implicit-def: $vgpr1
	v_cndmask_b32_e32 v5, v3, v5, vcc_lo
	v_cmp_gt_f32_e32 vcc_lo, v2, v4
	v_cndmask_b32_e32 v4, v2, v4, vcc_lo
                                        ; implicit-def: $vgpr2_vgpr3
.LBB28_736:
	s_or_saveexec_b32 s2, s2
	v_mov_b32_e32 v9, 1
	s_xor_b32 exec_lo, exec_lo, s2
	s_cbranch_execz .LBB28_740
; %bb.737:
	v_and_b32_e32 v1, 1, v1
	s_mov_b32 s3, exec_lo
	s_delay_alu instid0(VALU_DEP_1)
	v_cmpx_eq_u32_e32 1, v1
	s_cbranch_execz .LBB28_739
; %bb.738:
	s_wait_dscnt 0x0
	v_mov_b64_e32 v[4:5], v[2:3]
	v_mov_b32_e32 v8, 1
.LBB28_739:
	s_or_b32 exec_lo, exec_lo, s3
	s_delay_alu instid0(VALU_DEP_1)
	v_mov_b32_e32 v9, v8
.LBB28_740:
	s_or_b32 exec_lo, exec_lo, s2
	s_wait_dscnt 0x0
	s_delay_alu instid0(VALU_DEP_3) | instskip(NEXT) | instid1(VALU_DEP_2)
	v_mov_b64_e32 v[2:3], v[4:5]
	v_and_b32_e32 v1, 0xff, v9
	v_dual_mov_b32 v9, v4 :: v_dual_mov_b32 v10, v5
.LBB28_741:
	s_or_b32 exec_lo, exec_lo, s1
	s_wait_dscnt 0x2
	v_lshlrev_b32_e32 v8, 2, v6
	s_wait_dscnt 0x0
	s_delay_alu instid0(VALU_DEP_1) | instskip(SKIP_2) | instid1(VALU_DEP_1)
	v_or_b32_e32 v5, 64, v8
	ds_bpermute_b32 v4, v5, v9
	v_add_nc_u32_e32 v9, 16, v6
	v_cmp_lt_u32_e32 vcc_lo, v9, v7
	v_mov_b32_e32 v7, v1
	ds_bpermute_b32 v11, v5, v1
	ds_bpermute_b32 v5, v5, v10
	s_and_saveexec_b32 s1, vcc_lo
	s_cbranch_execz .LBB28_749
; %bb.742:
	s_wait_dscnt 0x1
	v_and_b32_e32 v7, v1, v11
	s_mov_b32 s2, exec_lo
	s_delay_alu instid0(VALU_DEP_1) | instskip(NEXT) | instid1(VALU_DEP_1)
	v_and_b32_e32 v7, 1, v7
	v_cmpx_eq_u32_e32 1, v7
	s_xor_b32 s2, exec_lo, s2
	s_cbranch_execz .LBB28_744
; %bb.743:
	s_wait_dscnt 0x0
	v_cmp_gt_f32_e32 vcc_lo, v5, v3
                                        ; implicit-def: $vgpr11
                                        ; implicit-def: $vgpr1
	v_cndmask_b32_e32 v5, v3, v5, vcc_lo
	v_cmp_gt_f32_e32 vcc_lo, v2, v4
	v_cndmask_b32_e32 v4, v2, v4, vcc_lo
                                        ; implicit-def: $vgpr2_vgpr3
.LBB28_744:
	s_or_saveexec_b32 s2, s2
	v_mov_b32_e32 v7, 1
	s_xor_b32 exec_lo, exec_lo, s2
	s_cbranch_execz .LBB28_748
; %bb.745:
	v_and_b32_e32 v1, 1, v1
	s_mov_b32 s3, exec_lo
	s_delay_alu instid0(VALU_DEP_1)
	v_cmpx_eq_u32_e32 1, v1
	s_cbranch_execz .LBB28_747
; %bb.746:
	s_wait_dscnt 0x0
	v_mov_b64_e32 v[4:5], v[2:3]
	v_mov_b32_e32 v11, 1
.LBB28_747:
	s_or_b32 exec_lo, exec_lo, s3
	s_delay_alu instid0(VALU_DEP_1)
	v_mov_b32_e32 v7, v11
.LBB28_748:
	s_or_b32 exec_lo, exec_lo, s2
	s_wait_dscnt 0x0
	s_delay_alu instid0(VALU_DEP_3) | instskip(NEXT) | instid1(VALU_DEP_2)
	v_mov_b64_e32 v[2:3], v[4:5]
	v_and_b32_e32 v1, 0xff, v7
.LBB28_749:
	s_or_b32 exec_lo, exec_lo, s1
	s_delay_alu instid0(SALU_CYCLE_1)
	s_mov_b32 s1, exec_lo
	v_cmpx_eq_u32_e32 0, v6
	s_cbranch_execz .LBB28_751
; %bb.750:
	s_wait_dscnt 0x2
	v_lshrrev_b32_e32 v4, 5, v0
	s_delay_alu instid0(VALU_DEP_1)
	v_mul_u32_u24_e32 v4, 12, v4
	ds_store_b8 v4, v7
	ds_store_2addr_b32 v4, v2, v3 offset0:1 offset1:2
.LBB28_751:
	s_or_b32 exec_lo, exec_lo, s1
	s_delay_alu instid0(SALU_CYCLE_1)
	s_mov_b32 s1, exec_lo
	s_wait_dscnt 0x0
	s_barrier_signal -1
	s_barrier_wait -1
	v_cmpx_gt_u32_e32 4, v0
	s_cbranch_execz .LBB28_769
; %bb.752:
	v_mul_u32_u24_e32 v1, 12, v6
	v_and_b32_e32 v7, 3, v6
	s_add_co_i32 s0, s0, 31
	ds_load_u8 v9, v1
	ds_load_2addr_b32 v[2:3], v1 offset0:1 offset1:2
	v_cmp_ne_u32_e32 vcc_lo, 3, v7
	s_lshr_b32 s0, s0, 5
	v_add_co_ci_u32_e64 v1, null, 0, v6, vcc_lo
	s_delay_alu instid0(VALU_DEP_1)
	v_dual_lshlrev_b32 v5, 2, v1 :: v_dual_add_nc_u32 v10, 1, v7
	s_wait_dscnt 0x1
	v_and_b32_e32 v1, 0xff, v9
	s_wait_dscnt 0x0
	ds_bpermute_b32 v4, v5, v2
	v_mov_b32_e32 v11, v3
	v_cmp_gt_u32_e32 vcc_lo, s0, v10
	v_mov_b32_e32 v10, v2
	ds_bpermute_b32 v6, v5, v1
	ds_bpermute_b32 v5, v5, v3
	s_and_saveexec_b32 s2, vcc_lo
	s_cbranch_execz .LBB28_760
; %bb.753:
	s_wait_dscnt 0x1
	v_and_b32_e32 v1, v1, v6
	s_mov_b32 s3, exec_lo
	s_delay_alu instid0(VALU_DEP_1) | instskip(NEXT) | instid1(VALU_DEP_1)
	v_and_b32_e32 v1, 1, v1
	v_cmpx_eq_u32_e32 1, v1
	s_xor_b32 s3, exec_lo, s3
	s_cbranch_execz .LBB28_755
; %bb.754:
	s_wait_dscnt 0x0
	v_cmp_gt_f32_e32 vcc_lo, v5, v3
                                        ; implicit-def: $vgpr6
                                        ; implicit-def: $vgpr9
	v_cndmask_b32_e32 v5, v3, v5, vcc_lo
	v_cmp_gt_f32_e32 vcc_lo, v2, v4
	v_cndmask_b32_e32 v4, v2, v4, vcc_lo
                                        ; implicit-def: $vgpr2_vgpr3
.LBB28_755:
	s_or_saveexec_b32 s3, s3
	v_mov_b32_e32 v1, 1
	s_xor_b32 exec_lo, exec_lo, s3
	s_cbranch_execz .LBB28_759
; %bb.756:
	v_and_b32_e32 v1, 1, v9
	s_mov_b32 s4, exec_lo
	s_delay_alu instid0(VALU_DEP_1)
	v_cmpx_eq_u32_e32 1, v1
	s_cbranch_execz .LBB28_758
; %bb.757:
	s_wait_dscnt 0x0
	v_mov_b64_e32 v[4:5], v[2:3]
	v_mov_b32_e32 v6, 1
.LBB28_758:
	s_or_b32 exec_lo, exec_lo, s4
	s_delay_alu instid0(VALU_DEP_1)
	v_mov_b32_e32 v1, v6
.LBB28_759:
	s_or_b32 exec_lo, exec_lo, s3
	s_wait_dscnt 0x0
	s_delay_alu instid0(VALU_DEP_3) | instskip(NEXT) | instid1(VALU_DEP_2)
	v_mov_b64_e32 v[2:3], v[4:5]
	v_and_b32_e32 v1, 0xff, v1
	v_dual_mov_b32 v10, v4 :: v_dual_mov_b32 v11, v5
.LBB28_760:
	s_or_b32 exec_lo, exec_lo, s2
	s_wait_dscnt 0x0
	v_dual_add_nc_u32 v7, 2, v7 :: v_dual_bitop2_b32 v5, 8, v8 bitop3:0x54
	ds_bpermute_b32 v6, v5, v1
	ds_bpermute_b32 v4, v5, v10
	ds_bpermute_b32 v5, v5, v11
	v_cmp_gt_u32_e32 vcc_lo, s0, v7
	s_and_saveexec_b32 s0, vcc_lo
	s_cbranch_execz .LBB28_768
; %bb.761:
	s_wait_dscnt 0x2
	v_and_b32_e32 v7, v1, v6
	s_mov_b32 s2, exec_lo
	s_delay_alu instid0(VALU_DEP_1) | instskip(NEXT) | instid1(VALU_DEP_1)
	v_and_b32_e32 v7, 1, v7
	v_cmpx_eq_u32_e32 1, v7
	s_xor_b32 s2, exec_lo, s2
	s_cbranch_execz .LBB28_763
; %bb.762:
	s_wait_dscnt 0x0
	v_cmp_gt_f32_e32 vcc_lo, v5, v3
                                        ; implicit-def: $vgpr6
                                        ; implicit-def: $vgpr1
	v_cndmask_b32_e32 v5, v3, v5, vcc_lo
	v_cmp_gt_f32_e32 vcc_lo, v2, v4
	v_cndmask_b32_e32 v4, v2, v4, vcc_lo
                                        ; implicit-def: $vgpr2_vgpr3
.LBB28_763:
	s_or_saveexec_b32 s2, s2
	v_mov_b32_e32 v7, 1
	s_xor_b32 exec_lo, exec_lo, s2
	s_cbranch_execz .LBB28_767
; %bb.764:
	v_and_b32_e32 v1, 1, v1
	s_mov_b32 s3, exec_lo
	s_delay_alu instid0(VALU_DEP_1)
	v_cmpx_eq_u32_e32 1, v1
	s_cbranch_execz .LBB28_766
; %bb.765:
	s_wait_dscnt 0x0
	v_mov_b64_e32 v[4:5], v[2:3]
	v_mov_b32_e32 v6, 1
.LBB28_766:
	s_or_b32 exec_lo, exec_lo, s3
	s_delay_alu instid0(VALU_DEP_1)
	v_mov_b32_e32 v7, v6
.LBB28_767:
	s_or_b32 exec_lo, exec_lo, s2
	s_wait_dscnt 0x0
	s_delay_alu instid0(VALU_DEP_3) | instskip(NEXT) | instid1(VALU_DEP_2)
	v_mov_b64_e32 v[2:3], v[4:5]
	v_mov_b32_e32 v1, v7
.LBB28_768:
	s_or_b32 exec_lo, exec_lo, s0
.LBB28_769:
	s_delay_alu instid0(SALU_CYCLE_1)
	s_or_b32 exec_lo, exec_lo, s1
.LBB28_770:
	s_delay_alu instid0(SALU_CYCLE_1)
	s_mov_b32 s0, exec_lo
                                        ; implicit-def: $vgpr4_vgpr5
                                        ; implicit-def: $vgpr6
	v_cmpx_eq_u32_e32 0, v0
	s_xor_b32 s0, exec_lo, s0
	s_cbranch_execz .LBB28_778
; %bb.771:
	s_wait_dscnt 0x0
	v_mov_b64_e32 v[4:5], s[24:25]
	v_mov_b32_e32 v6, s30
	s_cmp_eq_u64 s[20:21], 0
	s_cbranch_scc1 .LBB28_777
; %bb.772:
	v_and_b32_e32 v4, 1, v1
	s_bitcmp1_b32 s30, 0
                                        ; implicit-def: $vgpr6
	s_cselect_b32 s2, -1, 0
	s_delay_alu instid0(VALU_DEP_1) | instskip(SKIP_1) | instid1(SALU_CYCLE_1)
	v_cmp_eq_u32_e32 vcc_lo, 1, v4
                                        ; implicit-def: $vgpr4_vgpr5
	s_and_b32 s1, s2, vcc_lo
	s_xor_b32 s1, s1, -1
	s_delay_alu instid0(SALU_CYCLE_1) | instskip(NEXT) | instid1(SALU_CYCLE_1)
	s_and_saveexec_b32 s3, s1
	s_xor_b32 s1, exec_lo, s3
; %bb.773:
	v_cndmask_b32_e64 v6, v1, 1, s2
	v_cndmask_b32_e64 v5, v3, s25, s2
	v_cndmask_b32_e64 v4, v2, s24, s2
                                        ; implicit-def: $vgpr2_vgpr3
; %bb.774:
	s_and_not1_saveexec_b32 s1, s1
; %bb.775:
	v_cmp_lt_f32_e32 vcc_lo, s25, v3
	v_dual_mov_b32 v6, 1 :: v_dual_cndmask_b32 v5, s25, v3
	v_cmp_gt_f32_e32 vcc_lo, s24, v2
	v_cndmask_b32_e32 v4, s24, v2, vcc_lo
; %bb.776:
	s_or_b32 exec_lo, exec_lo, s1
.LBB28_777:
	s_delay_alu instid0(SALU_CYCLE_1)
	s_or_b32 s8, s8, exec_lo
.LBB28_778:
	s_or_b32 exec_lo, exec_lo, s0
	s_branch .LBB28_970
.LBB28_779:
	s_cmp_gt_i32 s28, 1
	s_cbranch_scc0 .LBB28_835
; %bb.780:
	s_cmp_eq_u32 s28, 2
	s_cbranch_scc0 .LBB28_836
; %bb.781:
	s_bfe_u32 s0, ttmp6, 0x4000c
	s_and_b32 s1, ttmp6, 15
	s_add_co_i32 s0, s0, 1
	s_getreg_b32 s2, hwreg(HW_REG_IB_STS2, 6, 4)
	s_mul_i32 s0, ttmp9, s0
	s_mov_b32 s27, 0
	s_add_co_i32 s1, s1, s0
	s_cmp_eq_u32 s2, 0
	s_mov_b32 s5, s27
	s_cselect_b32 s26, ttmp9, s1
	s_lshr_b64 s[0:1], s[20:21], 8
	s_lshl_b32 s4, s26, 8
	s_delay_alu instid0(SALU_CYCLE_1)
	s_lshl_b64 s[2:3], s[4:5], 2
	s_add_co_i32 s6, s29, s4
	s_cmp_lg_u64 s[0:1], s[26:27]
	s_add_nc_u64 s[2:3], s[16:17], s[2:3]
	s_cbranch_scc0 .LBB28_837
; %bb.782:
	s_wait_dscnt 0x1
	s_clause 0x1
	global_load_b32 v2, v0, s[2:3] scale_offset
	global_load_b32 v4, v0, s[2:3] offset:512 scale_offset
	s_abs_i32 s0, s19
	s_delay_alu instid0(SALU_CYCLE_1) | instskip(SKIP_1) | instid1(SALU_CYCLE_2)
	s_cvt_f32_u32 s1, s0
	s_sub_co_i32 s5, 0, s0
	v_rcp_iflag_f32_e32 v1, s1
	v_nop
	s_delay_alu instid0(TRANS32_DEP_1) | instskip(SKIP_3) | instid1(VALU_DEP_1)
	v_readfirstlane_b32 s1, v1
	v_add_nc_u32_e32 v1, s6, v0
	s_mul_f32 s1, s1, 0x4f7ffffe
	s_wait_dscnt 0x0
	v_add_nc_u32_e32 v5, 0x80, v1
	v_sub_nc_u32_e32 v6, 0xffffff80, v1
	s_cvt_u32_f32 s1, s1
	s_delay_alu instid0(VALU_DEP_1) | instskip(NEXT) | instid1(SALU_CYCLE_2)
	v_max_i32_e32 v6, v5, v6
	s_mul_i32 s5, s5, s1
	s_delay_alu instid0(SALU_CYCLE_1) | instskip(NEXT) | instid1(SALU_CYCLE_1)
	s_mul_hi_u32 s5, s1, s5
	s_add_co_i32 s1, s1, s5
	s_delay_alu instid0(VALU_DEP_1) | instid1(SALU_CYCLE_1)
	v_mul_hi_u32 v8, v6, s1
	s_delay_alu instid0(VALU_DEP_1) | instskip(NEXT) | instid1(VALU_DEP_1)
	v_mul_lo_u32 v8, v8, s0
	v_dual_sub_nc_u32 v3, 0, v1 :: v_dual_sub_nc_u32 v6, v6, v8
	s_delay_alu instid0(VALU_DEP_1) | instskip(NEXT) | instid1(VALU_DEP_2)
	v_dual_ashrrev_i32 v1, 31, v1 :: v_dual_max_i32 v3, v1, v3
	v_subrev_nc_u32_e32 v8, s0, v6
	s_delay_alu instid0(VALU_DEP_2) | instskip(NEXT) | instid1(VALU_DEP_1)
	v_mul_hi_u32 v7, v3, s1
	v_mul_lo_u32 v7, v7, s0
	s_delay_alu instid0(VALU_DEP_1) | instskip(NEXT) | instid1(VALU_DEP_1)
	v_sub_nc_u32_e32 v3, v3, v7
	v_subrev_nc_u32_e32 v7, s0, v3
	v_cmp_le_u32_e32 vcc_lo, s0, v3
	s_delay_alu instid0(VALU_DEP_2) | instskip(SKIP_1) | instid1(VALU_DEP_2)
	v_cndmask_b32_e32 v3, v3, v7, vcc_lo
	v_cmp_le_u32_e32 vcc_lo, s0, v6
	v_subrev_nc_u32_e32 v7, s0, v3
	v_cndmask_b32_e32 v6, v6, v8, vcc_lo
	v_cmp_le_u32_e32 vcc_lo, s0, v3
	v_ashrrev_i32_e32 v5, 31, v5
	s_delay_alu instid0(VALU_DEP_3) | instskip(SKIP_2) | instid1(VALU_DEP_2)
	v_subrev_nc_u32_e32 v8, s0, v6
	v_cndmask_b32_e32 v3, v3, v7, vcc_lo
	v_cmp_le_u32_e32 vcc_lo, s0, v6
	v_dual_cndmask_b32 v6, v6, v8, vcc_lo :: v_dual_bitop2_b32 v3, v3, v1 bitop3:0x14
	s_delay_alu instid0(VALU_DEP_1) | instskip(NEXT) | instid1(VALU_DEP_2)
	v_xor_b32_e32 v6, v6, v5
	v_sub_nc_u32_e32 v1, v3, v1
	s_delay_alu instid0(VALU_DEP_2) | instskip(NEXT) | instid1(VALU_DEP_2)
	v_sub_nc_u32_e32 v3, v6, v5
	v_cmp_le_i32_e64 s0, s18, v1
                                        ; implicit-def: $vgpr1
	s_delay_alu instid0(VALU_DEP_2) | instskip(SKIP_4) | instid1(SALU_CYCLE_1)
	v_cmp_le_i32_e64 s1, s18, v3
	v_cmp_gt_i32_e32 vcc_lo, s18, v3
	s_or_b32 s1, s0, s1
	s_wait_xcnt 0x0
	s_and_saveexec_b32 s5, s1
	s_xor_b32 s1, exec_lo, s5
	s_cbranch_execz .LBB28_786
; %bb.783:
	s_wait_loadcnt 0x1
	v_dual_mov_b32 v3, v2 :: v_dual_mov_b32 v1, 1
	s_and_saveexec_b32 s5, s0
	s_cbranch_execz .LBB28_785
; %bb.784:
	s_wait_loadcnt 0x0
	v_mov_b32_e32 v5, v4
	v_cndmask_b32_e64 v1, 0, 1, vcc_lo
	s_delay_alu instid0(VALU_DEP_2)
	v_mov_b64_e32 v[2:3], v[4:5]
.LBB28_785:
	s_or_b32 exec_lo, exec_lo, s5
                                        ; implicit-def: $vgpr4
.LBB28_786:
	s_and_not1_saveexec_b32 s0, s1
	s_cbranch_execz .LBB28_788
; %bb.787:
	s_wait_loadcnt 0x0
	s_delay_alu instid0(VALU_DEP_1)
	v_cmp_lt_f32_e32 vcc_lo, v2, v4
	v_dual_mov_b32 v1, 1 :: v_dual_cndmask_b32 v3, v2, v4, vcc_lo
	v_cmp_lt_f32_e32 vcc_lo, v4, v2
	v_cndmask_b32_e32 v2, v2, v4, vcc_lo
.LBB28_788:
	s_or_b32 exec_lo, exec_lo, s0
	s_delay_alu instid0(VALU_DEP_3) | instskip(SKIP_3) | instid1(VALU_DEP_3)
	v_and_b32_e32 v6, 0xff, v1
	v_and_b32_e32 v1, 1, v1
	v_mov_b32_dpp v5, v3 quad_perm:[1,0,3,2] row_mask:0xf bank_mask:0xf
	s_wait_loadcnt 0x0
	v_mov_b32_dpp v4, v6 quad_perm:[1,0,3,2] row_mask:0xf bank_mask:0xf
	s_delay_alu instid0(VALU_DEP_3) | instskip(NEXT) | instid1(VALU_DEP_2)
	v_cmp_eq_u32_e64 s0, 1, v1
                                        ; implicit-def: $vgpr1
	v_and_b32_e32 v4, 1, v4
	s_delay_alu instid0(VALU_DEP_1) | instskip(SKIP_2) | instid1(SALU_CYCLE_1)
	v_cmp_eq_u32_e32 vcc_lo, 1, v4
	v_mov_b32_dpp v4, v2 quad_perm:[1,0,3,2] row_mask:0xf bank_mask:0xf
	s_and_b32 s0, vcc_lo, s0
	s_xor_b32 s0, s0, -1
	s_delay_alu instid0(SALU_CYCLE_1) | instskip(NEXT) | instid1(SALU_CYCLE_1)
	s_and_saveexec_b32 s1, s0
	s_xor_b32 s0, exec_lo, s1
	s_cbranch_execz .LBB28_792
; %bb.789:
	v_mov_b32_e32 v1, 1
	s_xor_b32 s5, vcc_lo, -1
	s_delay_alu instid0(SALU_CYCLE_1)
	s_and_saveexec_b32 s1, s5
; %bb.790:
	v_mov_b64_e32 v[4:5], v[2:3]
	v_mov_b32_e32 v1, v6
; %bb.791:
	s_or_b32 exec_lo, exec_lo, s1
                                        ; implicit-def: $vgpr2_vgpr3
.LBB28_792:
	s_and_not1_saveexec_b32 s0, s0
; %bb.793:
	s_delay_alu instid0(VALU_DEP_2) | instskip(SKIP_1) | instid1(VALU_DEP_4)
	v_cmp_lt_f32_e32 vcc_lo, v5, v3
	v_dual_mov_b32 v1, 1 :: v_dual_cndmask_b32 v5, v5, v3, vcc_lo
	v_cmp_lt_f32_e32 vcc_lo, v2, v4
	v_cndmask_b32_e32 v4, v4, v2, vcc_lo
; %bb.794:
	s_or_b32 exec_lo, exec_lo, s0
	s_delay_alu instid0(VALU_DEP_3) | instskip(NEXT) | instid1(VALU_DEP_1)
	v_mov_b32_dpp v2, v1 quad_perm:[2,3,0,1] row_mask:0xf bank_mask:0xf
	v_and_b32_e32 v3, v2, v1
	v_and_b32_e32 v6, 1, v2
	v_mov_b32_dpp v2, v4 quad_perm:[2,3,0,1] row_mask:0xf bank_mask:0xf
	s_delay_alu instid0(VALU_DEP_3) | instskip(SKIP_1) | instid1(VALU_DEP_4)
	v_and_b32_e32 v7, 1, v3
	v_mov_b32_dpp v3, v5 quad_perm:[2,3,0,1] row_mask:0xf bank_mask:0xf
	v_cmp_ne_u32_e32 vcc_lo, 1, v6
                                        ; implicit-def: $vgpr6
	s_delay_alu instid0(VALU_DEP_3) | instskip(SKIP_1) | instid1(SALU_CYCLE_1)
	v_cmp_ne_u32_e64 s0, 1, v7
	s_and_saveexec_b32 s1, s0
	s_xor_b32 s0, exec_lo, s1
	s_cbranch_execz .LBB28_798
; %bb.795:
	v_mov_b32_e32 v6, 1
	s_and_saveexec_b32 s1, vcc_lo
; %bb.796:
	v_mov_b64_e32 v[2:3], v[4:5]
	v_mov_b32_e32 v6, v1
; %bb.797:
	s_or_b32 exec_lo, exec_lo, s1
                                        ; implicit-def: $vgpr4_vgpr5
.LBB28_798:
	s_and_not1_saveexec_b32 s0, s0
; %bb.799:
	s_delay_alu instid0(VALU_DEP_2) | instskip(SKIP_1) | instid1(VALU_DEP_4)
	v_cmp_lt_f32_e32 vcc_lo, v3, v5
	v_dual_mov_b32 v6, 1 :: v_dual_cndmask_b32 v3, v3, v5
	v_cmp_lt_f32_e32 vcc_lo, v4, v2
	v_cndmask_b32_e32 v2, v2, v4, vcc_lo
; %bb.800:
	s_or_b32 exec_lo, exec_lo, s0
	s_delay_alu instid0(VALU_DEP_3) | instskip(SKIP_1) | instid1(VALU_DEP_2)
	v_mov_b32_dpp v1, v6 row_ror:4 row_mask:0xf bank_mask:0xf
	v_mov_b32_dpp v5, v3 row_ror:4 row_mask:0xf bank_mask:0xf
	v_and_b32_e32 v4, v1, v6
	v_and_b32_e32 v1, 1, v1
	s_delay_alu instid0(VALU_DEP_2) | instskip(SKIP_1) | instid1(VALU_DEP_3)
	v_and_b32_e32 v7, 1, v4
	v_mov_b32_dpp v4, v2 row_ror:4 row_mask:0xf bank_mask:0xf
	v_cmp_ne_u32_e32 vcc_lo, 1, v1
                                        ; implicit-def: $vgpr1
	s_delay_alu instid0(VALU_DEP_3) | instskip(SKIP_1) | instid1(SALU_CYCLE_1)
	v_cmp_ne_u32_e64 s0, 1, v7
	s_and_saveexec_b32 s1, s0
	s_xor_b32 s0, exec_lo, s1
	s_cbranch_execz .LBB28_804
; %bb.801:
	v_mov_b32_e32 v1, 1
	s_and_saveexec_b32 s1, vcc_lo
; %bb.802:
	v_mov_b64_e32 v[4:5], v[2:3]
	v_mov_b32_e32 v1, v6
; %bb.803:
	s_or_b32 exec_lo, exec_lo, s1
                                        ; implicit-def: $vgpr2_vgpr3
.LBB28_804:
	s_and_not1_saveexec_b32 s0, s0
; %bb.805:
	s_delay_alu instid0(VALU_DEP_2) | instskip(SKIP_1) | instid1(VALU_DEP_4)
	v_cmp_lt_f32_e32 vcc_lo, v5, v3
	v_dual_mov_b32 v1, 1 :: v_dual_cndmask_b32 v5, v5, v3, vcc_lo
	v_cmp_lt_f32_e32 vcc_lo, v2, v4
	v_cndmask_b32_e32 v4, v4, v2, vcc_lo
; %bb.806:
	s_or_b32 exec_lo, exec_lo, s0
	s_delay_alu instid0(VALU_DEP_3) | instskip(NEXT) | instid1(VALU_DEP_1)
	v_mov_b32_dpp v2, v1 row_ror:8 row_mask:0xf bank_mask:0xf
	v_and_b32_e32 v3, v2, v1
	v_and_b32_e32 v6, 1, v2
	v_mov_b32_dpp v2, v4 row_ror:8 row_mask:0xf bank_mask:0xf
	s_delay_alu instid0(VALU_DEP_3) | instskip(SKIP_1) | instid1(VALU_DEP_4)
	v_and_b32_e32 v7, 1, v3
	v_mov_b32_dpp v3, v5 row_ror:8 row_mask:0xf bank_mask:0xf
	v_cmp_ne_u32_e32 vcc_lo, 1, v6
                                        ; implicit-def: $vgpr6
	s_delay_alu instid0(VALU_DEP_3) | instskip(SKIP_1) | instid1(SALU_CYCLE_1)
	v_cmp_ne_u32_e64 s0, 1, v7
	s_and_saveexec_b32 s1, s0
	s_xor_b32 s0, exec_lo, s1
	s_cbranch_execz .LBB28_810
; %bb.807:
	v_mov_b32_e32 v6, 1
	s_and_saveexec_b32 s1, vcc_lo
; %bb.808:
	v_mov_b64_e32 v[2:3], v[4:5]
	v_mov_b32_e32 v6, v1
; %bb.809:
	s_or_b32 exec_lo, exec_lo, s1
                                        ; implicit-def: $vgpr4_vgpr5
.LBB28_810:
	s_and_not1_saveexec_b32 s0, s0
; %bb.811:
	s_delay_alu instid0(VALU_DEP_2) | instskip(SKIP_1) | instid1(VALU_DEP_4)
	v_cmp_lt_f32_e32 vcc_lo, v3, v5
	v_dual_mov_b32 v6, 1 :: v_dual_cndmask_b32 v3, v3, v5
	v_cmp_lt_f32_e32 vcc_lo, v4, v2
	v_cndmask_b32_e32 v2, v2, v4, vcc_lo
; %bb.812:
	s_or_b32 exec_lo, exec_lo, s0
	ds_swizzle_b32 v1, v6 offset:swizzle(BROADCAST,32,15)
	ds_swizzle_b32 v4, v2 offset:swizzle(BROADCAST,32,15)
	;; [unrolled: 1-line block ×3, first 2 shown]
	s_wait_dscnt 0x2
	v_and_b32_e32 v7, v1, v6
	v_and_b32_e32 v1, 1, v1
	s_delay_alu instid0(VALU_DEP_2) | instskip(NEXT) | instid1(VALU_DEP_2)
	v_and_b32_e32 v7, 1, v7
	v_cmp_ne_u32_e32 vcc_lo, 1, v1
                                        ; implicit-def: $vgpr1
	s_delay_alu instid0(VALU_DEP_2) | instskip(SKIP_1) | instid1(SALU_CYCLE_1)
	v_cmp_ne_u32_e64 s0, 1, v7
	s_and_saveexec_b32 s1, s0
	s_xor_b32 s0, exec_lo, s1
	s_cbranch_execz .LBB28_816
; %bb.813:
	v_mov_b32_e32 v1, 1
	s_and_saveexec_b32 s1, vcc_lo
	s_cbranch_execz .LBB28_815
; %bb.814:
	s_wait_dscnt 0x0
	v_mov_b64_e32 v[4:5], v[2:3]
	v_mov_b32_e32 v1, v6
.LBB28_815:
	s_or_b32 exec_lo, exec_lo, s1
                                        ; implicit-def: $vgpr2_vgpr3
.LBB28_816:
	s_and_not1_saveexec_b32 s0, s0
	s_cbranch_execz .LBB28_818
; %bb.817:
	s_wait_dscnt 0x0
	s_delay_alu instid0(VALU_DEP_2)
	v_cmp_lt_f32_e32 vcc_lo, v5, v3
	v_dual_mov_b32 v1, 1 :: v_dual_cndmask_b32 v5, v5, v3, vcc_lo
	v_cmp_lt_f32_e32 vcc_lo, v2, v4
	v_cndmask_b32_e32 v4, v4, v2, vcc_lo
.LBB28_818:
	s_or_b32 exec_lo, exec_lo, s0
	v_mov_b32_e32 v3, 0
	s_mov_b32 s0, exec_lo
	ds_bpermute_b32 v8, v3, v1 offset:124
	s_wait_dscnt 0x2
	ds_bpermute_b32 v2, v3, v4 offset:124
	s_wait_dscnt 0x2
	ds_bpermute_b32 v3, v3, v5 offset:124
	v_mbcnt_lo_u32_b32 v1, -1, 0
	s_delay_alu instid0(VALU_DEP_1)
	v_cmpx_eq_u32_e32 0, v1
	s_cbranch_execz .LBB28_820
; %bb.819:
	v_lshrrev_b32_e32 v4, 5, v0
	s_delay_alu instid0(VALU_DEP_1)
	v_mul_u32_u24_e32 v4, 12, v4
	s_wait_dscnt 0x2
	ds_store_b8 v4, v8 offset:144
	s_wait_dscnt 0x1
	ds_store_2addr_b32 v4, v2, v3 offset0:37 offset1:38
.LBB28_820:
	s_or_b32 exec_lo, exec_lo, s0
	s_delay_alu instid0(SALU_CYCLE_1)
	s_mov_b32 s0, exec_lo
	s_wait_dscnt 0x0
	s_barrier_signal -1
	s_barrier_wait -1
	v_cmpx_gt_u32_e32 32, v0
	s_cbranch_execz .LBB28_834
; %bb.821:
	v_and_b32_e32 v2, 3, v1
	s_mov_b32 s1, exec_lo
	s_delay_alu instid0(VALU_DEP_1) | instskip(SKIP_1) | instid1(VALU_DEP_1)
	v_cmp_ne_u32_e32 vcc_lo, 3, v2
	v_add_co_ci_u32_e64 v4, null, 0, v1, vcc_lo
	v_lshlrev_b32_e32 v7, 2, v4
	v_mul_u32_u24_e32 v3, 12, v2
	ds_load_u8 v8, v3 offset:144
	ds_load_2addr_b32 v[2:3], v3 offset0:37 offset1:38
	s_wait_dscnt 0x1
	v_and_b32_e32 v5, 0xff, v8
	s_wait_dscnt 0x0
	ds_bpermute_b32 v4, v7, v2
	ds_bpermute_b32 v6, v7, v5
	;; [unrolled: 1-line block ×3, first 2 shown]
	s_wait_dscnt 0x1
	v_and_b32_e32 v7, v8, v6
	s_delay_alu instid0(VALU_DEP_1) | instskip(NEXT) | instid1(VALU_DEP_1)
	v_and_b32_e32 v7, 1, v7
	v_cmpx_eq_u32_e32 1, v7
	s_xor_b32 s1, exec_lo, s1
	s_cbranch_execz .LBB28_823
; %bb.822:
	s_wait_dscnt 0x0
	v_cmp_gt_f32_e32 vcc_lo, v5, v3
                                        ; implicit-def: $vgpr6
                                        ; implicit-def: $vgpr8
	v_cndmask_b32_e32 v5, v3, v5, vcc_lo
	v_cmp_gt_f32_e32 vcc_lo, v2, v4
	v_cndmask_b32_e32 v4, v2, v4, vcc_lo
                                        ; implicit-def: $vgpr2_vgpr3
.LBB28_823:
	s_or_saveexec_b32 s1, s1
	v_dual_lshlrev_b32 v1, 2, v1 :: v_dual_mov_b32 v7, 1
	s_xor_b32 exec_lo, exec_lo, s1
	s_cbranch_execz .LBB28_827
; %bb.824:
	v_and_b32_e32 v7, 1, v8
	s_mov_b32 s5, exec_lo
	s_delay_alu instid0(VALU_DEP_1)
	v_cmpx_eq_u32_e32 1, v7
	s_cbranch_execz .LBB28_826
; %bb.825:
	s_wait_dscnt 0x0
	v_mov_b64_e32 v[4:5], v[2:3]
	v_mov_b32_e32 v6, 1
.LBB28_826:
	s_or_b32 exec_lo, exec_lo, s5
	s_delay_alu instid0(VALU_DEP_1)
	v_mov_b32_e32 v7, v6
.LBB28_827:
	s_or_b32 exec_lo, exec_lo, s1
	s_delay_alu instid0(VALU_DEP_1)
	v_and_b32_e32 v2, 0xff, v7
	v_or_b32_e32 v3, 8, v1
	s_mov_b32 s1, exec_lo
	ds_bpermute_b32 v1, v3, v2
	ds_bpermute_b32 v2, v3, v4
	s_wait_dscnt 0x2
	ds_bpermute_b32 v3, v3, v5
	s_wait_dscnt 0x2
	v_and_b32_e32 v6, v7, v1
	s_delay_alu instid0(VALU_DEP_1) | instskip(NEXT) | instid1(VALU_DEP_1)
	v_and_b32_e32 v6, 1, v6
	v_cmpx_eq_u32_e32 1, v6
	s_xor_b32 s1, exec_lo, s1
	s_cbranch_execz .LBB28_829
; %bb.828:
	s_wait_dscnt 0x0
	v_cmp_gt_f32_e32 vcc_lo, v3, v5
                                        ; implicit-def: $vgpr1
                                        ; implicit-def: $vgpr7
	v_cndmask_b32_e32 v3, v5, v3, vcc_lo
	v_cmp_gt_f32_e32 vcc_lo, v4, v2
	v_cndmask_b32_e32 v2, v4, v2, vcc_lo
                                        ; implicit-def: $vgpr4_vgpr5
.LBB28_829:
	s_or_saveexec_b32 s1, s1
	v_mov_b32_e32 v8, 1
	s_xor_b32 exec_lo, exec_lo, s1
	s_cbranch_execz .LBB28_833
; %bb.830:
	v_and_b32_e32 v6, 1, v7
	s_mov_b32 s5, exec_lo
	s_delay_alu instid0(VALU_DEP_1)
	v_cmpx_eq_u32_e32 1, v6
	s_cbranch_execz .LBB28_832
; %bb.831:
	s_wait_dscnt 0x0
	v_mov_b64_e32 v[2:3], v[4:5]
	v_mov_b32_e32 v1, 1
.LBB28_832:
	s_or_b32 exec_lo, exec_lo, s5
	s_delay_alu instid0(VALU_DEP_1)
	v_mov_b32_e32 v8, v1
.LBB28_833:
	s_or_b32 exec_lo, exec_lo, s1
.LBB28_834:
	s_delay_alu instid0(SALU_CYCLE_1)
	s_or_b32 exec_lo, exec_lo, s0
	s_branch .LBB28_911
.LBB28_835:
                                        ; implicit-def: $vgpr4_vgpr5
                                        ; implicit-def: $vgpr6
                                        ; implicit-def: $sgpr26_sgpr27
	s_cbranch_execnz .LBB28_920
	s_branch .LBB28_970
.LBB28_836:
                                        ; implicit-def: $vgpr4_vgpr5
                                        ; implicit-def: $vgpr6
                                        ; implicit-def: $sgpr26_sgpr27
	s_branch .LBB28_970
.LBB28_837:
                                        ; implicit-def: $vgpr2_vgpr3
                                        ; implicit-def: $vgpr8
	s_cbranch_execz .LBB28_911
; %bb.838:
	s_wait_dscnt 0x2
	v_dual_mov_b32 v10, 0 :: v_dual_mov_b32 v6, 0
	s_wait_dscnt 0x1
	v_mov_b32_e32 v4, 0
	s_sub_co_i32 s1, s20, s4
	s_mov_b32 s0, exec_lo
	v_cmpx_gt_u32_e64 s1, v0
	s_cbranch_execz .LBB28_840
; %bb.839:
	global_load_b32 v4, v0, s[2:3] scale_offset
	s_abs_i32 s4, s19
	s_delay_alu instid0(SALU_CYCLE_1) | instskip(SKIP_1) | instid1(SALU_CYCLE_2)
	s_cvt_f32_u32 s5, s4
	s_sub_co_i32 s7, 0, s4
	v_rcp_iflag_f32_e32 v1, s5
	v_nop
	s_delay_alu instid0(TRANS32_DEP_1) | instskip(SKIP_2) | instid1(VALU_DEP_1)
	v_readfirstlane_b32 s5, v1
	v_add_nc_u32_e32 v1, s6, v0
	s_mul_f32 s5, s5, 0x4f7ffffe
	v_sub_nc_u32_e32 v2, 0, v1
	s_delay_alu instid0(SALU_CYCLE_2) | instskip(NEXT) | instid1(VALU_DEP_1)
	s_cvt_u32_f32 s5, s5
	v_max_i32_e32 v2, v1, v2
	s_delay_alu instid0(SALU_CYCLE_2) | instskip(NEXT) | instid1(SALU_CYCLE_1)
	s_mul_i32 s7, s7, s5
	s_mul_hi_u32 s7, s5, s7
	s_delay_alu instid0(SALU_CYCLE_1) | instskip(SKIP_2) | instid1(VALU_DEP_1)
	s_add_co_i32 s5, s5, s7
	s_wait_dscnt 0x0
	v_mul_hi_u32 v3, v2, s5
	v_mul_lo_u32 v3, v3, s4
	s_delay_alu instid0(VALU_DEP_1) | instskip(NEXT) | instid1(VALU_DEP_1)
	v_dual_sub_nc_u32 v2, v2, v3 :: v_dual_ashrrev_i32 v1, 31, v1
	v_subrev_nc_u32_e32 v3, s4, v2
	v_cmp_le_u32_e32 vcc_lo, s4, v2
	s_delay_alu instid0(VALU_DEP_2) | instskip(NEXT) | instid1(VALU_DEP_1)
	v_cndmask_b32_e32 v2, v2, v3, vcc_lo
	v_subrev_nc_u32_e32 v3, s4, v2
	v_cmp_le_u32_e32 vcc_lo, s4, v2
	s_delay_alu instid0(VALU_DEP_2) | instskip(NEXT) | instid1(VALU_DEP_1)
	v_cndmask_b32_e32 v2, v2, v3, vcc_lo
	v_xor_b32_e32 v2, v2, v1
	s_delay_alu instid0(VALU_DEP_1) | instskip(NEXT) | instid1(VALU_DEP_1)
	v_sub_nc_u32_e32 v1, v2, v1
	v_cmp_gt_i32_e32 vcc_lo, s18, v1
	v_cndmask_b32_e64 v10, 0, 1, vcc_lo
.LBB28_840:
	s_wait_xcnt 0x0
	s_or_b32 exec_lo, exec_lo, s0
	v_or_b32_e32 v2, 0x80, v0
	v_mov_b32_e32 v1, 0
	s_delay_alu instid0(VALU_DEP_2)
	v_cmp_gt_u32_e32 vcc_lo, s1, v2
	s_and_saveexec_b32 s4, vcc_lo
	s_cbranch_execz .LBB28_842
; %bb.841:
	global_load_b32 v6, v0, s[2:3] offset:512 scale_offset
	s_wait_xcnt 0x0
	s_abs_i32 s2, s19
	s_delay_alu instid0(SALU_CYCLE_1) | instskip(SKIP_1) | instid1(SALU_CYCLE_2)
	s_cvt_f32_u32 s0, s2
	s_sub_co_i32 s3, 0, s2
	v_rcp_iflag_f32_e32 v1, s0
	v_nop
	s_delay_alu instid0(TRANS32_DEP_1) | instskip(SKIP_2) | instid1(VALU_DEP_1)
	v_readfirstlane_b32 s0, v1
	v_add_nc_u32_e32 v1, s6, v2
	s_mul_f32 s0, s0, 0x4f7ffffe
	v_sub_nc_u32_e32 v2, 0, v1
	s_delay_alu instid0(SALU_CYCLE_2) | instskip(NEXT) | instid1(VALU_DEP_1)
	s_cvt_u32_f32 s0, s0
	v_max_i32_e32 v2, v1, v2
	s_delay_alu instid0(SALU_CYCLE_2) | instskip(NEXT) | instid1(SALU_CYCLE_1)
	s_mul_i32 s3, s3, s0
	s_mul_hi_u32 s3, s0, s3
	s_delay_alu instid0(SALU_CYCLE_1) | instskip(SKIP_2) | instid1(VALU_DEP_1)
	s_add_co_i32 s0, s0, s3
	s_wait_dscnt 0x0
	v_mul_hi_u32 v3, v2, s0
	v_mul_lo_u32 v3, v3, s2
	s_delay_alu instid0(VALU_DEP_1) | instskip(NEXT) | instid1(VALU_DEP_1)
	v_dual_sub_nc_u32 v2, v2, v3 :: v_dual_ashrrev_i32 v1, 31, v1
	v_subrev_nc_u32_e32 v3, s2, v2
	v_cmp_le_u32_e64 s0, s2, v2
	s_delay_alu instid0(VALU_DEP_1) | instskip(NEXT) | instid1(VALU_DEP_1)
	v_cndmask_b32_e64 v2, v2, v3, s0
	v_subrev_nc_u32_e32 v3, s2, v2
	v_cmp_le_u32_e64 s0, s2, v2
	s_delay_alu instid0(VALU_DEP_1) | instskip(NEXT) | instid1(VALU_DEP_1)
	v_cndmask_b32_e64 v2, v2, v3, s0
	v_xor_b32_e32 v2, v2, v1
	s_delay_alu instid0(VALU_DEP_1) | instskip(NEXT) | instid1(VALU_DEP_1)
	v_sub_nc_u32_e32 v1, v2, v1
	v_cmp_gt_i32_e64 s0, s18, v1
	s_delay_alu instid0(VALU_DEP_1)
	v_cndmask_b32_e64 v1, 0, 1, s0
.LBB28_842:
	s_or_b32 exec_lo, exec_lo, s4
	s_wait_loadcnt 0x0
	v_mov_b32_e32 v2, v4
	s_and_saveexec_b32 s2, vcc_lo
	s_cbranch_execz .LBB28_850
; %bb.843:
	v_and_b32_e32 v2, v10, v1
	s_wait_dscnt 0x0
	v_and_b32_e32 v3, 1, v10
                                        ; implicit-def: $vgpr10
                                        ; implicit-def: $vgpr8_vgpr9
	s_delay_alu instid0(VALU_DEP_2) | instskip(NEXT) | instid1(VALU_DEP_2)
	v_and_b32_e32 v2, 1, v2
	v_cmp_eq_u32_e32 vcc_lo, 1, v3
	s_delay_alu instid0(VALU_DEP_2) | instskip(SKIP_1) | instid1(SALU_CYCLE_1)
	v_cmp_eq_u32_e64 s0, 1, v2
	s_xor_b32 s0, s0, -1
	s_and_saveexec_b32 s3, s0
	s_delay_alu instid0(SALU_CYCLE_1)
	s_xor_b32 s0, exec_lo, s3
	s_cbranch_execz .LBB28_847
; %bb.844:
	v_mov_b64_e32 v[8:9], v[4:5]
	v_mov_b32_e32 v10, 1
	s_xor_b32 s4, vcc_lo, -1
	s_delay_alu instid0(SALU_CYCLE_1)
	s_and_saveexec_b32 s3, s4
; %bb.845:
	v_mov_b64_e32 v[8:9], v[6:7]
	v_dual_mov_b32 v4, v6 :: v_dual_mov_b32 v10, v1
; %bb.846:
	s_or_b32 exec_lo, exec_lo, s3
                                        ; implicit-def: $vgpr6
.LBB28_847:
	s_and_not1_saveexec_b32 s0, s0
; %bb.848:
	s_delay_alu instid0(VALU_DEP_1) | instskip(SKIP_3) | instid1(VALU_DEP_3)
	v_cmp_lt_f32_e32 vcc_lo, v6, v4
	v_cndmask_b32_e32 v1, v4, v6, vcc_lo
	v_cmp_lt_f32_e32 vcc_lo, v4, v6
	v_dual_mov_b32 v10, 1 :: v_dual_cndmask_b32 v8, v4, v6, vcc_lo
	v_mov_b32_e32 v4, v1
; %bb.849:
	s_or_b32 exec_lo, exec_lo, s0
	s_delay_alu instid0(VALU_DEP_1) | instskip(NEXT) | instid1(VALU_DEP_3)
	v_mov_b32_e32 v2, v4
	v_mov_b64_e32 v[4:5], v[8:9]
.LBB28_850:
	s_or_b32 exec_lo, exec_lo, s2
	v_mbcnt_lo_u32_b32 v1, -1, 0
	v_and_b32_e32 v8, 0xff, v10
	s_min_u32 s0, s1, 0x80
	s_delay_alu instid0(VALU_DEP_2) | instskip(SKIP_3) | instid1(VALU_DEP_1)
	v_cmp_ne_u32_e32 vcc_lo, 31, v1
	v_add_nc_u32_e32 v11, 1, v1
	s_wait_dscnt 0x0
	v_add_co_ci_u32_e64 v3, null, 0, v1, vcc_lo
	v_lshlrev_b32_e32 v3, 2, v3
	ds_bpermute_b32 v9, v3, v8
	ds_bpermute_b32 v6, v3, v2
	;; [unrolled: 1-line block ×3, first 2 shown]
	v_and_b32_e32 v3, 0x60, v0
	s_delay_alu instid0(VALU_DEP_1) | instskip(SKIP_1) | instid1(VALU_DEP_2)
	v_sub_nc_u32_e64 v5, s0, v3 clamp
	v_mov_b32_e32 v3, v4
	v_cmp_lt_u32_e32 vcc_lo, v11, v5
	v_mov_b32_e32 v11, v2
	s_and_saveexec_b32 s1, vcc_lo
	s_delay_alu instid0(SALU_CYCLE_1)
	s_xor_b32 s1, exec_lo, s1
	s_cbranch_execz .LBB28_858
; %bb.851:
	s_wait_dscnt 0x2
	v_and_b32_e32 v8, v9, v8
	s_mov_b32 s2, exec_lo
	s_delay_alu instid0(VALU_DEP_1)
	v_cmpx_ne_u32_e32 0, v8
	s_xor_b32 s2, exec_lo, s2
	s_cbranch_execz .LBB28_853
; %bb.852:
	s_wait_dscnt 0x0
	v_cmp_lt_f32_e32 vcc_lo, v4, v7
                                        ; implicit-def: $vgpr9
                                        ; implicit-def: $vgpr10
	v_cndmask_b32_e32 v7, v4, v7, vcc_lo
	v_cmp_lt_f32_e32 vcc_lo, v6, v2
	v_cndmask_b32_e32 v6, v2, v6, vcc_lo
                                        ; implicit-def: $vgpr2_vgpr3
.LBB28_853:
	s_or_saveexec_b32 s2, s2
	v_mov_b32_e32 v4, 1
	s_xor_b32 exec_lo, exec_lo, s2
	s_cbranch_execz .LBB28_857
; %bb.854:
	v_and_b32_e32 v4, 1, v10
	s_mov_b32 s3, exec_lo
	s_delay_alu instid0(VALU_DEP_1)
	v_cmpx_eq_u32_e32 1, v4
	s_cbranch_execz .LBB28_856
; %bb.855:
	s_wait_dscnt 0x0
	v_mov_b64_e32 v[6:7], v[2:3]
	v_mov_b32_e32 v9, 1
.LBB28_856:
	s_or_b32 exec_lo, exec_lo, s3
	s_delay_alu instid0(VALU_DEP_1)
	v_mov_b32_e32 v4, v9
.LBB28_857:
	s_or_b32 exec_lo, exec_lo, s2
	s_wait_dscnt 0x0
	s_delay_alu instid0(VALU_DEP_3) | instskip(NEXT) | instid1(VALU_DEP_2)
	v_mov_b64_e32 v[2:3], v[6:7]
	v_and_b32_e32 v8, 0xff, v4
	v_dual_mov_b32 v11, v6 :: v_dual_mov_b32 v4, v7
.LBB28_858:
	s_or_b32 exec_lo, exec_lo, s1
	v_cmp_gt_u32_e32 vcc_lo, 30, v1
	v_add_nc_u32_e32 v10, 2, v1
	s_mov_b32 s1, exec_lo
	s_wait_dscnt 0x1
	v_cndmask_b32_e64 v6, 0, 2, vcc_lo
	s_wait_dscnt 0x0
	s_delay_alu instid0(VALU_DEP_1)
	v_add_lshl_u32 v7, v6, v1, 2
	ds_bpermute_b32 v9, v7, v8
	ds_bpermute_b32 v6, v7, v11
	;; [unrolled: 1-line block ×3, first 2 shown]
	v_cmpx_lt_u32_e64 v10, v5
	s_cbranch_execz .LBB28_866
; %bb.859:
	s_wait_dscnt 0x2
	v_and_b32_e32 v4, v8, v9
	s_mov_b32 s2, exec_lo
	s_delay_alu instid0(VALU_DEP_1) | instskip(NEXT) | instid1(VALU_DEP_1)
	v_and_b32_e32 v4, 1, v4
	v_cmpx_eq_u32_e32 1, v4
	s_xor_b32 s2, exec_lo, s2
	s_cbranch_execz .LBB28_861
; %bb.860:
	s_wait_dscnt 0x0
	v_cmp_lt_f32_e32 vcc_lo, v3, v7
                                        ; implicit-def: $vgpr9
                                        ; implicit-def: $vgpr8
	v_cndmask_b32_e32 v7, v3, v7, vcc_lo
	v_cmp_lt_f32_e32 vcc_lo, v6, v2
	v_cndmask_b32_e32 v6, v2, v6, vcc_lo
                                        ; implicit-def: $vgpr2_vgpr3
.LBB28_861:
	s_or_saveexec_b32 s2, s2
	v_mov_b32_e32 v4, 1
	s_xor_b32 exec_lo, exec_lo, s2
	s_cbranch_execz .LBB28_865
; %bb.862:
	v_and_b32_e32 v4, 1, v8
	s_mov_b32 s3, exec_lo
	s_delay_alu instid0(VALU_DEP_1)
	v_cmpx_eq_u32_e32 1, v4
	s_cbranch_execz .LBB28_864
; %bb.863:
	s_wait_dscnt 0x0
	v_mov_b64_e32 v[6:7], v[2:3]
	v_mov_b32_e32 v9, 1
.LBB28_864:
	s_or_b32 exec_lo, exec_lo, s3
	s_delay_alu instid0(VALU_DEP_1)
	v_mov_b32_e32 v4, v9
.LBB28_865:
	s_or_b32 exec_lo, exec_lo, s2
	s_wait_dscnt 0x0
	s_delay_alu instid0(VALU_DEP_3) | instskip(NEXT) | instid1(VALU_DEP_2)
	v_mov_b64_e32 v[2:3], v[6:7]
	v_and_b32_e32 v8, 0xff, v4
	v_dual_mov_b32 v11, v6 :: v_dual_mov_b32 v4, v7
.LBB28_866:
	s_or_b32 exec_lo, exec_lo, s1
	v_cmp_gt_u32_e32 vcc_lo, 28, v1
	v_add_nc_u32_e32 v10, 4, v1
	s_mov_b32 s1, exec_lo
	s_wait_dscnt 0x1
	v_cndmask_b32_e64 v6, 0, 4, vcc_lo
	s_wait_dscnt 0x0
	s_delay_alu instid0(VALU_DEP_1)
	v_add_lshl_u32 v7, v6, v1, 2
	ds_bpermute_b32 v9, v7, v8
	ds_bpermute_b32 v6, v7, v11
	ds_bpermute_b32 v7, v7, v4
	v_cmpx_lt_u32_e64 v10, v5
	s_cbranch_execz .LBB28_874
; %bb.867:
	s_wait_dscnt 0x2
	v_and_b32_e32 v4, v8, v9
	s_mov_b32 s2, exec_lo
	s_delay_alu instid0(VALU_DEP_1) | instskip(NEXT) | instid1(VALU_DEP_1)
	v_and_b32_e32 v4, 1, v4
	v_cmpx_eq_u32_e32 1, v4
	s_xor_b32 s2, exec_lo, s2
	s_cbranch_execz .LBB28_869
; %bb.868:
	s_wait_dscnt 0x1
	v_cmp_gt_f32_e32 vcc_lo, v2, v6
                                        ; implicit-def: $vgpr9
                                        ; implicit-def: $vgpr8
	v_cndmask_b32_e32 v6, v2, v6, vcc_lo
	s_wait_dscnt 0x0
	v_cmp_lt_f32_e32 vcc_lo, v3, v7
	v_cndmask_b32_e32 v7, v3, v7, vcc_lo
                                        ; implicit-def: $vgpr2_vgpr3
.LBB28_869:
	s_or_saveexec_b32 s2, s2
	v_mov_b32_e32 v4, 1
	s_xor_b32 exec_lo, exec_lo, s2
	s_cbranch_execz .LBB28_873
; %bb.870:
	v_and_b32_e32 v4, 1, v8
	s_mov_b32 s3, exec_lo
	s_delay_alu instid0(VALU_DEP_1)
	v_cmpx_eq_u32_e32 1, v4
	s_cbranch_execz .LBB28_872
; %bb.871:
	s_wait_dscnt 0x0
	v_mov_b64_e32 v[6:7], v[2:3]
	v_mov_b32_e32 v9, 1
.LBB28_872:
	s_or_b32 exec_lo, exec_lo, s3
	s_delay_alu instid0(VALU_DEP_1)
	v_mov_b32_e32 v4, v9
.LBB28_873:
	s_or_b32 exec_lo, exec_lo, s2
	s_wait_dscnt 0x0
	s_delay_alu instid0(VALU_DEP_3) | instskip(NEXT) | instid1(VALU_DEP_2)
	v_mov_b64_e32 v[2:3], v[6:7]
	v_and_b32_e32 v8, 0xff, v4
	v_dual_mov_b32 v11, v6 :: v_dual_mov_b32 v4, v7
.LBB28_874:
	s_or_b32 exec_lo, exec_lo, s1
	v_cmp_gt_u32_e32 vcc_lo, 24, v1
	v_add_nc_u32_e32 v10, 8, v1
	s_mov_b32 s1, exec_lo
	s_wait_dscnt 0x1
	v_cndmask_b32_e64 v6, 0, 8, vcc_lo
	s_wait_dscnt 0x0
	s_delay_alu instid0(VALU_DEP_1)
	v_add_lshl_u32 v7, v6, v1, 2
	ds_bpermute_b32 v9, v7, v8
	ds_bpermute_b32 v6, v7, v11
	;; [unrolled: 1-line block ×3, first 2 shown]
	v_cmpx_lt_u32_e64 v10, v5
	s_cbranch_execz .LBB28_882
; %bb.875:
	s_wait_dscnt 0x2
	v_and_b32_e32 v4, v8, v9
	s_mov_b32 s2, exec_lo
	s_delay_alu instid0(VALU_DEP_1) | instskip(NEXT) | instid1(VALU_DEP_1)
	v_and_b32_e32 v4, 1, v4
	v_cmpx_eq_u32_e32 1, v4
	s_xor_b32 s2, exec_lo, s2
	s_cbranch_execz .LBB28_877
; %bb.876:
	s_wait_dscnt 0x0
	v_cmp_gt_f32_e32 vcc_lo, v7, v3
                                        ; implicit-def: $vgpr9
                                        ; implicit-def: $vgpr8
	v_cndmask_b32_e32 v7, v3, v7, vcc_lo
	v_cmp_gt_f32_e32 vcc_lo, v2, v6
	v_cndmask_b32_e32 v6, v2, v6, vcc_lo
                                        ; implicit-def: $vgpr2_vgpr3
.LBB28_877:
	s_or_saveexec_b32 s2, s2
	v_mov_b32_e32 v4, 1
	s_xor_b32 exec_lo, exec_lo, s2
	s_cbranch_execz .LBB28_881
; %bb.878:
	v_and_b32_e32 v4, 1, v8
	s_mov_b32 s3, exec_lo
	s_delay_alu instid0(VALU_DEP_1)
	v_cmpx_eq_u32_e32 1, v4
	s_cbranch_execz .LBB28_880
; %bb.879:
	s_wait_dscnt 0x0
	v_mov_b64_e32 v[6:7], v[2:3]
	v_mov_b32_e32 v9, 1
.LBB28_880:
	s_or_b32 exec_lo, exec_lo, s3
	s_delay_alu instid0(VALU_DEP_1)
	v_mov_b32_e32 v4, v9
.LBB28_881:
	s_or_b32 exec_lo, exec_lo, s2
	s_wait_dscnt 0x0
	s_delay_alu instid0(VALU_DEP_3) | instskip(NEXT) | instid1(VALU_DEP_2)
	v_mov_b64_e32 v[2:3], v[6:7]
	v_and_b32_e32 v8, 0xff, v4
	v_dual_mov_b32 v11, v6 :: v_dual_mov_b32 v4, v7
.LBB28_882:
	s_or_b32 exec_lo, exec_lo, s1
	s_wait_dscnt 0x2
	v_lshlrev_b32_e32 v9, 2, v1
	s_wait_dscnt 0x0
	s_delay_alu instid0(VALU_DEP_1) | instskip(SKIP_4) | instid1(VALU_DEP_1)
	v_or_b32_e32 v7, 64, v9
	ds_bpermute_b32 v10, v7, v8
	ds_bpermute_b32 v6, v7, v11
	;; [unrolled: 1-line block ×3, first 2 shown]
	v_add_nc_u32_e32 v4, 16, v1
	v_cmp_lt_u32_e32 vcc_lo, v4, v5
	v_mov_b32_e32 v4, v8
	s_and_saveexec_b32 s1, vcc_lo
	s_cbranch_execz .LBB28_890
; %bb.883:
	s_wait_dscnt 0x2
	v_and_b32_e32 v4, v8, v10
	s_mov_b32 s2, exec_lo
	s_delay_alu instid0(VALU_DEP_1) | instskip(NEXT) | instid1(VALU_DEP_1)
	v_and_b32_e32 v4, 1, v4
	v_cmpx_eq_u32_e32 1, v4
	s_xor_b32 s2, exec_lo, s2
	s_cbranch_execz .LBB28_885
; %bb.884:
	s_wait_dscnt 0x0
	v_cmp_gt_f32_e32 vcc_lo, v7, v3
                                        ; implicit-def: $vgpr10
                                        ; implicit-def: $vgpr8
	v_cndmask_b32_e32 v7, v3, v7, vcc_lo
	v_cmp_gt_f32_e32 vcc_lo, v2, v6
	v_cndmask_b32_e32 v6, v2, v6, vcc_lo
                                        ; implicit-def: $vgpr2_vgpr3
.LBB28_885:
	s_or_saveexec_b32 s2, s2
	v_mov_b32_e32 v4, 1
	s_xor_b32 exec_lo, exec_lo, s2
	s_cbranch_execz .LBB28_889
; %bb.886:
	v_and_b32_e32 v4, 1, v8
	s_mov_b32 s3, exec_lo
	s_delay_alu instid0(VALU_DEP_1)
	v_cmpx_eq_u32_e32 1, v4
	s_cbranch_execz .LBB28_888
; %bb.887:
	s_wait_dscnt 0x0
	v_mov_b64_e32 v[6:7], v[2:3]
	v_mov_b32_e32 v10, 1
.LBB28_888:
	s_or_b32 exec_lo, exec_lo, s3
	s_delay_alu instid0(VALU_DEP_1)
	v_mov_b32_e32 v4, v10
.LBB28_889:
	s_or_b32 exec_lo, exec_lo, s2
	s_wait_dscnt 0x0
	s_delay_alu instid0(VALU_DEP_3) | instskip(NEXT) | instid1(VALU_DEP_2)
	v_mov_b64_e32 v[2:3], v[6:7]
	v_and_b32_e32 v8, 0xff, v4
.LBB28_890:
	s_or_b32 exec_lo, exec_lo, s1
	s_delay_alu instid0(SALU_CYCLE_1)
	s_mov_b32 s1, exec_lo
	v_cmpx_eq_u32_e32 0, v1
	s_cbranch_execz .LBB28_892
; %bb.891:
	v_lshrrev_b32_e32 v5, 5, v0
	s_delay_alu instid0(VALU_DEP_1)
	v_mul_u32_u24_e32 v5, 12, v5
	ds_store_b8 v5, v4
	ds_store_2addr_b32 v5, v2, v3 offset0:1 offset1:2
.LBB28_892:
	s_or_b32 exec_lo, exec_lo, s1
	s_delay_alu instid0(SALU_CYCLE_1)
	s_mov_b32 s1, exec_lo
	s_wait_dscnt 0x0
	s_barrier_signal -1
	s_barrier_wait -1
	v_cmpx_gt_u32_e32 4, v0
	s_cbranch_execz .LBB28_910
; %bb.893:
	v_mul_u32_u24_e32 v2, 12, v1
	v_and_b32_e32 v6, 3, v1
	s_add_co_i32 s0, s0, 31
	ds_load_u8 v7, v2
	ds_load_2addr_b32 v[2:3], v2 offset0:1 offset1:2
	v_cmp_ne_u32_e32 vcc_lo, 3, v6
	s_lshr_b32 s0, s0, 5
	v_add_co_ci_u32_e64 v1, null, 0, v1, vcc_lo
	s_delay_alu instid0(VALU_DEP_1)
	v_dual_lshlrev_b32 v5, 2, v1 :: v_dual_add_nc_u32 v10, 1, v6
	s_wait_dscnt 0x1
	v_and_b32_e32 v8, 0xff, v7
	s_wait_dscnt 0x0
	ds_bpermute_b32 v4, v5, v2
	v_mov_b32_e32 v11, v3
	v_cmp_gt_u32_e32 vcc_lo, s0, v10
	v_mov_b32_e32 v10, v2
	ds_bpermute_b32 v1, v5, v8
	ds_bpermute_b32 v5, v5, v3
	s_and_saveexec_b32 s2, vcc_lo
	s_cbranch_execz .LBB28_901
; %bb.894:
	s_wait_dscnt 0x1
	v_and_b32_e32 v8, v8, v1
	s_mov_b32 s3, exec_lo
	s_delay_alu instid0(VALU_DEP_1) | instskip(NEXT) | instid1(VALU_DEP_1)
	v_and_b32_e32 v8, 1, v8
	v_cmpx_eq_u32_e32 1, v8
	s_xor_b32 s3, exec_lo, s3
	s_cbranch_execz .LBB28_896
; %bb.895:
	s_wait_dscnt 0x0
	v_cmp_gt_f32_e32 vcc_lo, v5, v3
                                        ; implicit-def: $vgpr1
                                        ; implicit-def: $vgpr7
	v_cndmask_b32_e32 v5, v3, v5, vcc_lo
	v_cmp_gt_f32_e32 vcc_lo, v2, v4
	v_cndmask_b32_e32 v4, v2, v4, vcc_lo
                                        ; implicit-def: $vgpr2_vgpr3
.LBB28_896:
	s_or_saveexec_b32 s3, s3
	v_mov_b32_e32 v8, 1
	s_xor_b32 exec_lo, exec_lo, s3
	s_cbranch_execz .LBB28_900
; %bb.897:
	v_and_b32_e32 v7, 1, v7
	s_mov_b32 s4, exec_lo
	s_delay_alu instid0(VALU_DEP_1)
	v_cmpx_eq_u32_e32 1, v7
	s_cbranch_execz .LBB28_899
; %bb.898:
	s_wait_dscnt 0x0
	v_mov_b64_e32 v[4:5], v[2:3]
	v_mov_b32_e32 v1, 1
.LBB28_899:
	s_or_b32 exec_lo, exec_lo, s4
	s_delay_alu instid0(VALU_DEP_1)
	v_mov_b32_e32 v8, v1
.LBB28_900:
	s_or_b32 exec_lo, exec_lo, s3
	s_wait_dscnt 0x0
	s_delay_alu instid0(VALU_DEP_3) | instskip(NEXT) | instid1(VALU_DEP_2)
	v_mov_b64_e32 v[2:3], v[4:5]
	v_and_b32_e32 v8, 0xff, v8
	v_dual_mov_b32 v10, v4 :: v_dual_mov_b32 v11, v5
.LBB28_901:
	s_or_b32 exec_lo, exec_lo, s2
	s_wait_dscnt 0x0
	v_dual_add_nc_u32 v6, 2, v6 :: v_dual_bitop2_b32 v5, 8, v9 bitop3:0x54
	ds_bpermute_b32 v1, v5, v8
	ds_bpermute_b32 v4, v5, v10
	ds_bpermute_b32 v5, v5, v11
	v_cmp_gt_u32_e32 vcc_lo, s0, v6
	s_and_saveexec_b32 s0, vcc_lo
	s_cbranch_execz .LBB28_909
; %bb.902:
	s_wait_dscnt 0x2
	v_and_b32_e32 v6, v8, v1
	s_mov_b32 s2, exec_lo
	s_delay_alu instid0(VALU_DEP_1) | instskip(NEXT) | instid1(VALU_DEP_1)
	v_and_b32_e32 v6, 1, v6
	v_cmpx_eq_u32_e32 1, v6
	s_xor_b32 s2, exec_lo, s2
	s_cbranch_execz .LBB28_904
; %bb.903:
	s_wait_dscnt 0x0
	v_cmp_gt_f32_e32 vcc_lo, v5, v3
                                        ; implicit-def: $vgpr1
                                        ; implicit-def: $vgpr8
	v_cndmask_b32_e32 v5, v3, v5, vcc_lo
	v_cmp_gt_f32_e32 vcc_lo, v2, v4
	v_cndmask_b32_e32 v4, v2, v4, vcc_lo
                                        ; implicit-def: $vgpr2_vgpr3
.LBB28_904:
	s_or_saveexec_b32 s2, s2
	v_mov_b32_e32 v6, 1
	s_xor_b32 exec_lo, exec_lo, s2
	s_cbranch_execz .LBB28_908
; %bb.905:
	v_and_b32_e32 v6, 1, v8
	s_mov_b32 s3, exec_lo
	s_delay_alu instid0(VALU_DEP_1)
	v_cmpx_eq_u32_e32 1, v6
	s_cbranch_execz .LBB28_907
; %bb.906:
	s_wait_dscnt 0x0
	v_mov_b64_e32 v[4:5], v[2:3]
	v_mov_b32_e32 v1, 1
.LBB28_907:
	s_or_b32 exec_lo, exec_lo, s3
	s_delay_alu instid0(VALU_DEP_1)
	v_mov_b32_e32 v6, v1
.LBB28_908:
	s_or_b32 exec_lo, exec_lo, s2
	s_wait_dscnt 0x0
	s_delay_alu instid0(VALU_DEP_3) | instskip(NEXT) | instid1(VALU_DEP_2)
	v_mov_b64_e32 v[2:3], v[4:5]
	v_mov_b32_e32 v8, v6
.LBB28_909:
	s_or_b32 exec_lo, exec_lo, s0
.LBB28_910:
	s_delay_alu instid0(SALU_CYCLE_1)
	s_or_b32 exec_lo, exec_lo, s1
.LBB28_911:
	s_delay_alu instid0(SALU_CYCLE_1)
	s_mov_b32 s0, exec_lo
                                        ; implicit-def: $vgpr4_vgpr5
                                        ; implicit-def: $vgpr6
	v_cmpx_eq_u32_e32 0, v0
	s_xor_b32 s0, exec_lo, s0
	s_cbranch_execz .LBB28_919
; %bb.912:
	s_wait_dscnt 0x0
	v_mov_b64_e32 v[4:5], s[24:25]
	v_mov_b32_e32 v6, s30
	s_cmp_eq_u64 s[20:21], 0
	s_cbranch_scc1 .LBB28_918
; %bb.913:
	v_and_b32_e32 v1, 1, v8
	s_bitcmp1_b32 s30, 0
                                        ; implicit-def: $vgpr4_vgpr5
                                        ; implicit-def: $vgpr6
	s_cselect_b32 s2, -1, 0
	s_delay_alu instid0(VALU_DEP_1) | instskip(SKIP_1) | instid1(SALU_CYCLE_1)
	v_cmp_eq_u32_e32 vcc_lo, 1, v1
	s_and_b32 s1, s2, vcc_lo
	s_xor_b32 s1, s1, -1
	s_delay_alu instid0(SALU_CYCLE_1) | instskip(NEXT) | instid1(SALU_CYCLE_1)
	s_and_saveexec_b32 s3, s1
	s_xor_b32 s1, exec_lo, s3
; %bb.914:
	v_cndmask_b32_e64 v6, v8, 1, s2
	v_cndmask_b32_e64 v5, v3, s25, s2
	;; [unrolled: 1-line block ×3, first 2 shown]
                                        ; implicit-def: $vgpr2_vgpr3
; %bb.915:
	s_and_not1_saveexec_b32 s1, s1
; %bb.916:
	v_cmp_lt_f32_e32 vcc_lo, s25, v3
	v_dual_mov_b32 v6, 1 :: v_dual_cndmask_b32 v5, s25, v3
	v_cmp_gt_f32_e32 vcc_lo, s24, v2
	v_cndmask_b32_e32 v4, s24, v2, vcc_lo
; %bb.917:
	s_or_b32 exec_lo, exec_lo, s1
.LBB28_918:
	s_delay_alu instid0(SALU_CYCLE_1)
	s_or_b32 s8, s8, exec_lo
.LBB28_919:
	s_or_b32 exec_lo, exec_lo, s0
	s_branch .LBB28_970
.LBB28_920:
	s_cmp_eq_u32 s28, 1
	s_cbranch_scc0 .LBB28_969
; %bb.921:
	s_bfe_u32 s0, ttmp6, 0x4000c
	s_and_b32 s1, ttmp6, 15
	s_add_co_i32 s0, s0, 1
	s_getreg_b32 s2, hwreg(HW_REG_IB_STS2, 6, 4)
	s_mul_i32 s0, ttmp9, s0
	s_mov_b32 s3, 0
	s_add_co_i32 s1, s1, s0
	s_cmp_eq_u32 s2, 0
	s_mov_b32 s27, s3
	s_cselect_b32 s26, ttmp9, s1
	s_lshr_b64 s[0:1], s[20:21], 7
	s_lshl_b32 s2, s26, 7
	s_cmp_lg_u64 s[0:1], s[26:27]
	s_cbranch_scc0 .LBB28_973
; %bb.922:
	s_lshl_b64 s[0:1], s[2:3], 2
	s_delay_alu instid0(SALU_CYCLE_1) | instskip(SKIP_4) | instid1(SALU_CYCLE_1)
	s_add_nc_u64 s[0:1], s[16:17], s[0:1]
	s_wait_dscnt 0x1
	global_load_b32 v2, v0, s[0:1] scale_offset
	s_wait_xcnt 0x0
	s_abs_i32 s0, s19
	s_cvt_f32_u32 s1, s0
	s_sub_co_i32 s4, 0, s0
	s_delay_alu instid0(SALU_CYCLE_2) | instskip(SKIP_1) | instid1(TRANS32_DEP_1)
	v_rcp_iflag_f32_e32 v1, s1
	v_nop
	v_readfirstlane_b32 s1, v1
	v_add3_u32 v1, s29, s2, v0
	s_mul_f32 s1, s1, 0x4f7ffffe
	s_wait_dscnt 0x0
	s_delay_alu instid0(VALU_DEP_1) | instskip(NEXT) | instid1(SALU_CYCLE_1)
	v_sub_nc_u32_e32 v3, 0, v1
	s_cvt_u32_f32 s1, s1
	s_delay_alu instid0(VALU_DEP_1) | instskip(NEXT) | instid1(SALU_CYCLE_2)
	v_dual_ashrrev_i32 v1, 31, v1 :: v_dual_max_i32 v3, v1, v3
	s_mul_i32 s4, s4, s1
	s_delay_alu instid0(SALU_CYCLE_1) | instskip(NEXT) | instid1(SALU_CYCLE_1)
	s_mul_hi_u32 s4, s1, s4
	s_add_co_i32 s1, s1, s4
	s_delay_alu instid0(VALU_DEP_1) | instid1(SALU_CYCLE_1)
	v_mul_hi_u32 v4, v3, s1
	s_delay_alu instid0(VALU_DEP_1) | instskip(NEXT) | instid1(VALU_DEP_1)
	v_mul_lo_u32 v4, v4, s0
	v_sub_nc_u32_e32 v3, v3, v4
	s_delay_alu instid0(VALU_DEP_1) | instskip(SKIP_1) | instid1(VALU_DEP_2)
	v_subrev_nc_u32_e32 v4, s0, v3
	v_cmp_le_u32_e32 vcc_lo, s0, v3
	v_cndmask_b32_e32 v3, v3, v4, vcc_lo
	s_delay_alu instid0(VALU_DEP_1) | instskip(SKIP_1) | instid1(VALU_DEP_2)
	v_subrev_nc_u32_e32 v4, s0, v3
	v_cmp_le_u32_e32 vcc_lo, s0, v3
	v_cndmask_b32_e32 v3, v3, v4, vcc_lo
                                        ; implicit-def: $vgpr5
	s_delay_alu instid0(VALU_DEP_1) | instskip(NEXT) | instid1(VALU_DEP_1)
	v_xor_b32_e32 v3, v3, v1
	v_sub_nc_u32_e32 v1, v3, v1
	s_delay_alu instid0(VALU_DEP_1) | instskip(NEXT) | instid1(VALU_DEP_1)
	v_cmp_gt_i32_e64 s0, s18, v1
	v_cndmask_b32_e64 v3, 0, 1, s0
	s_delay_alu instid0(VALU_DEP_1) | instskip(NEXT) | instid1(VALU_DEP_1)
	v_mov_b32_dpp v1, v3 quad_perm:[1,0,3,2] row_mask:0xf bank_mask:0xf
	v_and_b32_e32 v1, 1, v1
	s_delay_alu instid0(VALU_DEP_1) | instskip(SKIP_1) | instid1(SALU_CYCLE_1)
	v_cmp_eq_u32_e32 vcc_lo, 1, v1
                                        ; implicit-def: $vgpr1
	s_and_b32 s0, vcc_lo, s0
	s_xor_b32 s0, s0, -1
	s_wait_loadcnt 0x0
	v_mov_b32_dpp v6, v2 quad_perm:[1,0,3,2] row_mask:0xf bank_mask:0xf
	s_and_saveexec_b32 s1, s0
	s_delay_alu instid0(SALU_CYCLE_1)
	s_xor_b32 s0, exec_lo, s1
	s_cbranch_execz .LBB28_926
; %bb.923:
	s_delay_alu instid0(VALU_DEP_1) | instskip(SKIP_2) | instid1(SALU_CYCLE_1)
	v_mov_b64_e32 v[4:5], v[6:7]
	v_mov_b32_e32 v1, 1
	s_xor_b32 s4, vcc_lo, -1
	s_and_saveexec_b32 s1, s4
; %bb.924:
	v_mov_b64_e32 v[4:5], v[2:3]
	v_dual_mov_b32 v6, v2 :: v_dual_mov_b32 v1, v3
; %bb.925:
	s_or_b32 exec_lo, exec_lo, s1
	s_delay_alu instid0(VALU_DEP_1)
	v_mov_b32_e32 v5, v6
                                        ; implicit-def: $vgpr2
                                        ; implicit-def: $vgpr6
.LBB28_926:
	s_and_not1_saveexec_b32 s0, s0
; %bb.927:
	v_cmp_lt_f32_e32 vcc_lo, v6, v2
	v_dual_mov_b32 v1, 1 :: v_dual_cndmask_b32 v5, v6, v2, vcc_lo
	v_cmp_lt_f32_e32 vcc_lo, v2, v6
	v_cndmask_b32_e32 v4, v6, v2, vcc_lo
; %bb.928:
	s_or_b32 exec_lo, exec_lo, s0
	s_delay_alu instid0(VALU_DEP_3) | instskip(NEXT) | instid1(VALU_DEP_2)
	v_mov_b32_dpp v2, v1 quad_perm:[2,3,0,1] row_mask:0xf bank_mask:0xf
	v_dual_mov_b32 v6, v5 :: v_dual_mov_b32 v7, v4
	s_delay_alu instid0(VALU_DEP_2) | instskip(SKIP_2) | instid1(VALU_DEP_3)
	v_and_b32_e32 v8, 1, v2
	v_and_b32_e32 v3, v2, v1
	v_mov_b32_dpp v2, v5 quad_perm:[2,3,0,1] row_mask:0xf bank_mask:0xf
	v_cmp_ne_u32_e32 vcc_lo, 1, v8
	s_delay_alu instid0(VALU_DEP_3) | instskip(SKIP_1) | instid1(VALU_DEP_2)
	v_and_b32_e32 v9, 1, v3
	v_mov_b32_dpp v3, v4 quad_perm:[2,3,0,1] row_mask:0xf bank_mask:0xf
                                        ; implicit-def: $vgpr8
	v_cmp_ne_u32_e64 s0, 1, v9
	s_and_saveexec_b32 s1, s0
	s_delay_alu instid0(SALU_CYCLE_1)
	s_xor_b32 s0, exec_lo, s1
	s_cbranch_execz .LBB28_932
; %bb.929:
	v_mov_b32_e32 v8, 1
	s_and_saveexec_b32 s1, vcc_lo
; %bb.930:
	v_mov_b64_e32 v[2:3], v[6:7]
	v_mov_b32_e32 v8, v1
; %bb.931:
	s_or_b32 exec_lo, exec_lo, s1
                                        ; implicit-def: $vgpr4_vgpr5
.LBB28_932:
	s_and_not1_saveexec_b32 s0, s0
; %bb.933:
	s_delay_alu instid0(VALU_DEP_2) | instskip(SKIP_1) | instid1(VALU_DEP_4)
	v_cmp_lt_f32_e32 vcc_lo, v4, v3
	v_dual_mov_b32 v8, 1 :: v_dual_cndmask_b32 v3, v3, v4
	v_cmp_lt_f32_e32 vcc_lo, v2, v5
	v_cndmask_b32_e32 v2, v2, v5, vcc_lo
; %bb.934:
	s_or_b32 exec_lo, exec_lo, s0
	s_delay_alu instid0(VALU_DEP_3) | instskip(SKIP_1) | instid1(VALU_DEP_2)
	v_mov_b32_dpp v1, v8 row_ror:4 row_mask:0xf bank_mask:0xf
	v_mov_b32_dpp v5, v3 row_ror:4 row_mask:0xf bank_mask:0xf
	v_and_b32_e32 v4, v1, v8
	v_and_b32_e32 v1, 1, v1
	s_delay_alu instid0(VALU_DEP_2) | instskip(SKIP_1) | instid1(VALU_DEP_3)
	v_and_b32_e32 v6, 1, v4
	v_mov_b32_dpp v4, v2 row_ror:4 row_mask:0xf bank_mask:0xf
	v_cmp_ne_u32_e32 vcc_lo, 1, v1
                                        ; implicit-def: $vgpr1
	s_delay_alu instid0(VALU_DEP_3) | instskip(SKIP_1) | instid1(SALU_CYCLE_1)
	v_cmp_ne_u32_e64 s0, 1, v6
	s_and_saveexec_b32 s1, s0
	s_xor_b32 s0, exec_lo, s1
	s_cbranch_execz .LBB28_938
; %bb.935:
	v_mov_b32_e32 v1, 1
	s_and_saveexec_b32 s1, vcc_lo
; %bb.936:
	v_mov_b64_e32 v[4:5], v[2:3]
	v_mov_b32_e32 v1, v8
; %bb.937:
	s_or_b32 exec_lo, exec_lo, s1
                                        ; implicit-def: $vgpr2_vgpr3
.LBB28_938:
	s_and_not1_saveexec_b32 s0, s0
; %bb.939:
	s_delay_alu instid0(VALU_DEP_2) | instskip(SKIP_1) | instid1(VALU_DEP_4)
	v_cmp_lt_f32_e32 vcc_lo, v3, v5
	v_dual_mov_b32 v1, 1 :: v_dual_cndmask_b32 v5, v5, v3, vcc_lo
	v_cmp_lt_f32_e32 vcc_lo, v4, v2
	v_cndmask_b32_e32 v4, v4, v2, vcc_lo
; %bb.940:
	s_or_b32 exec_lo, exec_lo, s0
	s_delay_alu instid0(VALU_DEP_3) | instskip(NEXT) | instid1(VALU_DEP_1)
	v_mov_b32_dpp v2, v1 row_ror:8 row_mask:0xf bank_mask:0xf
	v_and_b32_e32 v3, v2, v1
	v_and_b32_e32 v6, 1, v2
	v_mov_b32_dpp v2, v4 row_ror:8 row_mask:0xf bank_mask:0xf
	s_delay_alu instid0(VALU_DEP_3) | instskip(SKIP_1) | instid1(VALU_DEP_4)
	v_and_b32_e32 v7, 1, v3
	v_mov_b32_dpp v3, v5 row_ror:8 row_mask:0xf bank_mask:0xf
	v_cmp_ne_u32_e32 vcc_lo, 1, v6
                                        ; implicit-def: $vgpr6
	s_delay_alu instid0(VALU_DEP_3) | instskip(SKIP_1) | instid1(SALU_CYCLE_1)
	v_cmp_ne_u32_e64 s0, 1, v7
	s_and_saveexec_b32 s1, s0
	s_xor_b32 s0, exec_lo, s1
	s_cbranch_execz .LBB28_944
; %bb.941:
	v_mov_b32_e32 v6, 1
	s_and_saveexec_b32 s1, vcc_lo
; %bb.942:
	v_mov_b64_e32 v[2:3], v[4:5]
	v_mov_b32_e32 v6, v1
; %bb.943:
	s_or_b32 exec_lo, exec_lo, s1
                                        ; implicit-def: $vgpr4_vgpr5
.LBB28_944:
	s_and_not1_saveexec_b32 s0, s0
; %bb.945:
	s_delay_alu instid0(VALU_DEP_2) | instskip(SKIP_1) | instid1(VALU_DEP_4)
	v_cmp_lt_f32_e32 vcc_lo, v5, v3
	v_dual_mov_b32 v6, 1 :: v_dual_cndmask_b32 v3, v3, v5
	v_cmp_lt_f32_e32 vcc_lo, v2, v4
	v_cndmask_b32_e32 v2, v2, v4, vcc_lo
; %bb.946:
	s_or_b32 exec_lo, exec_lo, s0
	ds_swizzle_b32 v1, v6 offset:swizzle(BROADCAST,32,15)
	ds_swizzle_b32 v5, v3 offset:swizzle(BROADCAST,32,15)
	;; [unrolled: 1-line block ×3, first 2 shown]
	s_wait_dscnt 0x2
	v_and_b32_e32 v7, v1, v6
	v_and_b32_e32 v1, 1, v1
	s_delay_alu instid0(VALU_DEP_2) | instskip(NEXT) | instid1(VALU_DEP_2)
	v_and_b32_e32 v7, 1, v7
	v_cmp_ne_u32_e32 vcc_lo, 1, v1
                                        ; implicit-def: $vgpr1
	s_delay_alu instid0(VALU_DEP_2) | instskip(SKIP_1) | instid1(SALU_CYCLE_1)
	v_cmp_ne_u32_e64 s0, 1, v7
	s_and_saveexec_b32 s1, s0
	s_xor_b32 s0, exec_lo, s1
	s_cbranch_execz .LBB28_950
; %bb.947:
	v_mov_b32_e32 v1, 1
	s_and_saveexec_b32 s1, vcc_lo
	s_cbranch_execz .LBB28_949
; %bb.948:
	s_wait_dscnt 0x0
	v_mov_b64_e32 v[4:5], v[2:3]
	v_mov_b32_e32 v1, v6
.LBB28_949:
	s_or_b32 exec_lo, exec_lo, s1
                                        ; implicit-def: $vgpr2_vgpr3
.LBB28_950:
	s_and_not1_saveexec_b32 s0, s0
	s_cbranch_execz .LBB28_952
; %bb.951:
	s_wait_dscnt 0x1
	s_delay_alu instid0(VALU_DEP_2)
	v_cmp_lt_f32_e32 vcc_lo, v3, v5
	v_dual_mov_b32 v1, 1 :: v_dual_cndmask_b32 v5, v5, v3, vcc_lo
	s_wait_dscnt 0x0
	v_cmp_lt_f32_e32 vcc_lo, v4, v2
	v_cndmask_b32_e32 v4, v4, v2, vcc_lo
.LBB28_952:
	s_or_b32 exec_lo, exec_lo, s0
	v_mov_b32_e32 v3, 0
	s_mov_b32 s0, exec_lo
	ds_bpermute_b32 v10, v3, v1 offset:124
	s_wait_dscnt 0x2
	ds_bpermute_b32 v2, v3, v5 offset:124
	s_wait_dscnt 0x2
	ds_bpermute_b32 v3, v3, v4 offset:124
	v_mbcnt_lo_u32_b32 v1, -1, 0
	s_delay_alu instid0(VALU_DEP_1)
	v_cmpx_eq_u32_e32 0, v1
	s_cbranch_execz .LBB28_954
; %bb.953:
	v_lshrrev_b32_e32 v4, 5, v0
	s_delay_alu instid0(VALU_DEP_1)
	v_mul_u32_u24_e32 v4, 12, v4
	s_wait_dscnt 0x2
	ds_store_b8 v4, v10 offset:96
	s_wait_dscnt 0x1
	ds_store_2addr_b32 v4, v2, v3 offset0:25 offset1:26
.LBB28_954:
	s_or_b32 exec_lo, exec_lo, s0
	s_delay_alu instid0(SALU_CYCLE_1)
	s_mov_b32 s0, exec_lo
	s_wait_dscnt 0x0
	s_barrier_signal -1
	s_barrier_wait -1
	v_cmpx_gt_u32_e32 32, v0
	s_cbranch_execz .LBB28_968
; %bb.955:
	v_and_b32_e32 v2, 3, v1
	s_mov_b32 s1, exec_lo
	s_delay_alu instid0(VALU_DEP_1) | instskip(SKIP_1) | instid1(VALU_DEP_1)
	v_cmp_ne_u32_e32 vcc_lo, 3, v2
	v_add_co_ci_u32_e64 v4, null, 0, v1, vcc_lo
	v_lshlrev_b32_e32 v7, 2, v4
	v_mul_u32_u24_e32 v3, 12, v2
	ds_load_u8 v8, v3 offset:96
	ds_load_2addr_b32 v[2:3], v3 offset0:25 offset1:26
	s_wait_dscnt 0x1
	v_and_b32_e32 v5, 0xff, v8
	s_wait_dscnt 0x0
	ds_bpermute_b32 v4, v7, v2
	ds_bpermute_b32 v6, v7, v5
	;; [unrolled: 1-line block ×3, first 2 shown]
	s_wait_dscnt 0x1
	v_and_b32_e32 v7, v8, v6
	s_delay_alu instid0(VALU_DEP_1) | instskip(NEXT) | instid1(VALU_DEP_1)
	v_and_b32_e32 v7, 1, v7
	v_cmpx_eq_u32_e32 1, v7
	s_xor_b32 s1, exec_lo, s1
	s_cbranch_execz .LBB28_957
; %bb.956:
	s_wait_dscnt 0x0
	v_cmp_gt_f32_e32 vcc_lo, v5, v3
                                        ; implicit-def: $vgpr6
                                        ; implicit-def: $vgpr8
	v_cndmask_b32_e32 v5, v3, v5, vcc_lo
	v_cmp_gt_f32_e32 vcc_lo, v2, v4
	v_cndmask_b32_e32 v4, v2, v4, vcc_lo
                                        ; implicit-def: $vgpr2_vgpr3
.LBB28_957:
	s_or_saveexec_b32 s1, s1
	v_dual_lshlrev_b32 v1, 2, v1 :: v_dual_mov_b32 v7, 1
	s_xor_b32 exec_lo, exec_lo, s1
	s_cbranch_execz .LBB28_961
; %bb.958:
	v_and_b32_e32 v7, 1, v8
	s_mov_b32 s4, exec_lo
	s_delay_alu instid0(VALU_DEP_1)
	v_cmpx_eq_u32_e32 1, v7
	s_cbranch_execz .LBB28_960
; %bb.959:
	s_wait_dscnt 0x0
	v_mov_b64_e32 v[4:5], v[2:3]
	v_mov_b32_e32 v6, 1
.LBB28_960:
	s_or_b32 exec_lo, exec_lo, s4
	s_delay_alu instid0(VALU_DEP_1)
	v_mov_b32_e32 v7, v6
.LBB28_961:
	s_or_b32 exec_lo, exec_lo, s1
	s_delay_alu instid0(VALU_DEP_1)
	v_and_b32_e32 v2, 0xff, v7
	v_or_b32_e32 v3, 8, v1
	s_mov_b32 s1, exec_lo
	ds_bpermute_b32 v1, v3, v2
	ds_bpermute_b32 v2, v3, v4
	s_wait_dscnt 0x2
	ds_bpermute_b32 v3, v3, v5
	s_wait_dscnt 0x2
	v_and_b32_e32 v6, v7, v1
	s_delay_alu instid0(VALU_DEP_1) | instskip(NEXT) | instid1(VALU_DEP_1)
	v_and_b32_e32 v6, 1, v6
	v_cmpx_eq_u32_e32 1, v6
	s_xor_b32 s1, exec_lo, s1
	s_cbranch_execz .LBB28_963
; %bb.962:
	s_wait_dscnt 0x0
	v_cmp_gt_f32_e32 vcc_lo, v3, v5
                                        ; implicit-def: $vgpr1
                                        ; implicit-def: $vgpr7
	v_cndmask_b32_e32 v3, v5, v3, vcc_lo
	v_cmp_gt_f32_e32 vcc_lo, v4, v2
	v_cndmask_b32_e32 v2, v4, v2, vcc_lo
                                        ; implicit-def: $vgpr4_vgpr5
.LBB28_963:
	s_or_saveexec_b32 s1, s1
	v_mov_b32_e32 v10, 1
	s_xor_b32 exec_lo, exec_lo, s1
	s_cbranch_execz .LBB28_967
; %bb.964:
	v_and_b32_e32 v6, 1, v7
	s_mov_b32 s4, exec_lo
	s_delay_alu instid0(VALU_DEP_1)
	v_cmpx_eq_u32_e32 1, v6
	s_cbranch_execz .LBB28_966
; %bb.965:
	s_wait_dscnt 0x0
	v_mov_b64_e32 v[2:3], v[4:5]
	v_mov_b32_e32 v1, 1
.LBB28_966:
	s_or_b32 exec_lo, exec_lo, s4
	s_delay_alu instid0(VALU_DEP_1)
	v_mov_b32_e32 v10, v1
.LBB28_967:
	s_or_b32 exec_lo, exec_lo, s1
.LBB28_968:
	s_delay_alu instid0(SALU_CYCLE_1)
	s_or_b32 exec_lo, exec_lo, s0
	s_branch .LBB28_1039
.LBB28_969:
                                        ; implicit-def: $vgpr4_vgpr5
                                        ; implicit-def: $vgpr6
                                        ; implicit-def: $sgpr26_sgpr27
.LBB28_970:
	s_and_saveexec_b32 s0, s8
	s_cbranch_execz .LBB28_972
.LBB28_971:
	v_mov_b32_e32 v0, 0
	s_mul_u64 s[0:1], s[26:27], 12
	s_delay_alu instid0(SALU_CYCLE_1)
	s_add_nc_u64 s[0:1], s[22:23], s[0:1]
	s_wait_dscnt 0x2
	global_store_b8 v0, v6, s[0:1]
	s_wait_dscnt 0x0
	global_store_b64 v0, v[4:5], s[0:1] offset:4
.LBB28_972:
	s_endpgm
.LBB28_973:
                                        ; implicit-def: $vgpr2_vgpr3
                                        ; implicit-def: $vgpr10
	s_cbranch_execz .LBB28_1039
; %bb.974:
	s_wait_dscnt 0x1
	v_dual_mov_b32 v8, 0 :: v_dual_mov_b32 v2, 0
	s_sub_co_i32 s0, s20, s2
	s_mov_b32 s1, exec_lo
	v_cmpx_gt_u32_e64 s0, v0
	s_cbranch_execz .LBB28_976
; %bb.975:
	s_lshl_b64 s[4:5], s[2:3], 2
	s_abs_i32 s3, s19
	s_add_nc_u64 s[4:5], s[16:17], s[4:5]
	global_load_b32 v2, v0, s[4:5] scale_offset
	s_wait_xcnt 0x0
	s_cvt_f32_u32 s4, s3
	s_delay_alu instid0(SALU_CYCLE_3) | instskip(SKIP_1) | instid1(TRANS32_DEP_1)
	v_rcp_iflag_f32_e32 v1, s4
	v_nop
	v_readfirstlane_b32 s4, v1
	v_add3_u32 v1, s29, s2, v0
	s_mul_f32 s2, s4, 0x4f7ffffe
	s_wait_dscnt 0x0
	s_delay_alu instid0(VALU_DEP_1) | instskip(SKIP_2) | instid1(VALU_DEP_1)
	v_sub_nc_u32_e32 v3, 0, v1
	s_sub_co_i32 s4, 0, s3
	s_cvt_u32_f32 s2, s2
	v_dual_ashrrev_i32 v1, 31, v1 :: v_dual_max_i32 v3, v1, v3
	s_delay_alu instid0(SALU_CYCLE_2) | instskip(NEXT) | instid1(SALU_CYCLE_1)
	s_mul_i32 s4, s4, s2
	s_mul_hi_u32 s4, s2, s4
	s_delay_alu instid0(SALU_CYCLE_1)
	s_add_co_i32 s2, s2, s4
	s_delay_alu instid0(VALU_DEP_1) | instid1(SALU_CYCLE_1)
	v_mul_hi_u32 v4, v3, s2
	s_delay_alu instid0(VALU_DEP_1) | instskip(NEXT) | instid1(VALU_DEP_1)
	v_mul_lo_u32 v4, v4, s3
	v_sub_nc_u32_e32 v3, v3, v4
	s_delay_alu instid0(VALU_DEP_1) | instskip(SKIP_1) | instid1(VALU_DEP_2)
	v_subrev_nc_u32_e32 v4, s3, v3
	v_cmp_le_u32_e32 vcc_lo, s3, v3
	v_cndmask_b32_e32 v3, v3, v4, vcc_lo
	s_delay_alu instid0(VALU_DEP_1) | instskip(SKIP_1) | instid1(VALU_DEP_2)
	v_subrev_nc_u32_e32 v4, s3, v3
	v_cmp_le_u32_e32 vcc_lo, s3, v3
	v_cndmask_b32_e32 v3, v3, v4, vcc_lo
	s_delay_alu instid0(VALU_DEP_1) | instskip(NEXT) | instid1(VALU_DEP_1)
	v_xor_b32_e32 v3, v3, v1
	v_sub_nc_u32_e32 v1, v3, v1
	s_delay_alu instid0(VALU_DEP_1)
	v_cmp_gt_i32_e32 vcc_lo, s18, v1
	v_cndmask_b32_e64 v8, 0, 1, vcc_lo
.LBB28_976:
	s_or_b32 exec_lo, exec_lo, s1
	v_mbcnt_lo_u32_b32 v1, -1, 0
	s_delay_alu instid0(VALU_DEP_2) | instskip(SKIP_2) | instid1(VALU_DEP_2)
	v_and_b32_e32 v10, 0xffff, v8
	s_min_u32 s0, s0, 0x80
	s_mov_b32 s1, exec_lo
                                        ; implicit-def: $vgpr6_vgpr7
	v_cmp_ne_u32_e32 vcc_lo, 31, v1
	s_wait_dscnt 0x0
	v_add_co_ci_u32_e64 v3, null, 0, v1, vcc_lo
	s_delay_alu instid0(VALU_DEP_1) | instskip(SKIP_4) | instid1(VALU_DEP_1)
	v_lshlrev_b32_e32 v3, 2, v3
	ds_bpermute_b32 v9, v3, v10
	s_wait_loadcnt 0x0
	ds_bpermute_b32 v4, v3, v2
	v_and_b32_e32 v3, 0x60, v0
	v_sub_nc_u32_e64 v11, s0, v3 clamp
	v_add_nc_u32_e32 v3, 1, v1
	s_delay_alu instid0(VALU_DEP_1)
	v_cmpx_ge_u32_e64 v3, v11
	s_xor_b32 s1, exec_lo, s1
	s_cbranch_execz .LBB28_978
; %bb.977:
	v_mov_b32_e32 v3, v2
                                        ; implicit-def: $vgpr9
                                        ; implicit-def: $vgpr8
	s_wait_dscnt 0x0
	s_delay_alu instid0(VALU_DEP_1)
	v_mov_b64_e32 v[4:5], v[2:3]
	v_mov_b64_e32 v[6:7], v[2:3]
                                        ; implicit-def: $vgpr2
.LBB28_978:
	s_and_not1_saveexec_b32 s1, s1
	s_cbranch_execz .LBB28_986
; %bb.979:
	s_wait_dscnt 0x1
	v_and_b32_e32 v5, v9, v10
	s_mov_b32 s2, exec_lo
                                        ; implicit-def: $vgpr6_vgpr7
	s_delay_alu instid0(VALU_DEP_1) | instskip(NEXT) | instid1(VALU_DEP_1)
	v_and_b32_e32 v5, 1, v5
	v_cmpx_eq_u32_e32 1, v5
	s_xor_b32 s2, exec_lo, s2
	s_cbranch_execz .LBB28_981
; %bb.980:
	s_wait_dscnt 0x0
	v_cmp_lt_f32_e32 vcc_lo, v4, v2
                                        ; implicit-def: $vgpr9
                                        ; implicit-def: $vgpr8
	v_cndmask_b32_e32 v3, v2, v4, vcc_lo
	v_cmp_lt_f32_e32 vcc_lo, v2, v4
	s_delay_alu instid0(VALU_DEP_2)
	v_dual_cndmask_b32 v6, v2, v4, vcc_lo :: v_dual_mov_b32 v4, v3
                                        ; implicit-def: $vgpr2
.LBB28_981:
	s_or_saveexec_b32 s2, s2
	v_mov_b32_e32 v5, 1
	s_xor_b32 exec_lo, exec_lo, s2
	s_cbranch_execz .LBB28_985
; %bb.982:
	v_and_b32_e32 v5, 1, v8
	s_mov_b32 s3, exec_lo
	s_wait_dscnt 0x0
	s_delay_alu instid0(VALU_DEP_1)
	v_mov_b64_e32 v[6:7], v[4:5]
	v_cmpx_eq_u32_e32 1, v5
; %bb.983:
	v_mov_b64_e32 v[6:7], v[2:3]
	v_dual_mov_b32 v9, 1 :: v_dual_mov_b32 v4, v2
; %bb.984:
	s_or_b32 exec_lo, exec_lo, s3
	s_delay_alu instid0(VALU_DEP_1)
	v_mov_b32_e32 v5, v9
.LBB28_985:
	s_or_b32 exec_lo, exec_lo, s2
	s_wait_dscnt 0x0
	v_mov_b32_e32 v7, v4
	s_delay_alu instid0(VALU_DEP_2)
	v_and_b32_e32 v10, 0xff, v5
	v_mov_b32_e32 v5, v6
.LBB28_986:
	s_or_b32 exec_lo, exec_lo, s1
	v_cmp_gt_u32_e32 vcc_lo, 30, v1
	s_delay_alu instid0(VALU_DEP_2) | instskip(SKIP_2) | instid1(VALU_DEP_1)
	v_dual_add_nc_u32 v13, 2, v1 :: v_dual_mov_b32 v3, v6
	s_mov_b32 s1, exec_lo
	v_cndmask_b32_e64 v2, 0, 2, vcc_lo
	v_add_lshl_u32 v2, v2, v1, 2
	ds_bpermute_b32 v12, v2, v10
	s_wait_dscnt 0x1
	ds_bpermute_b32 v8, v2, v4
	ds_bpermute_b32 v9, v2, v5
	v_mov_b32_e32 v2, v7
	v_cmpx_lt_u32_e64 v13, v11
	s_cbranch_execz .LBB28_994
; %bb.987:
	s_wait_dscnt 0x2
	v_and_b32_e32 v4, v10, v12
	s_mov_b32 s2, exec_lo
	s_delay_alu instid0(VALU_DEP_1) | instskip(NEXT) | instid1(VALU_DEP_1)
	v_and_b32_e32 v4, 1, v4
	v_cmpx_eq_u32_e32 1, v4
	s_xor_b32 s2, exec_lo, s2
	s_cbranch_execz .LBB28_989
; %bb.988:
	s_wait_dscnt 0x0
	v_cmp_lt_f32_e32 vcc_lo, v6, v9
                                        ; implicit-def: $vgpr2_vgpr3
                                        ; implicit-def: $vgpr12
                                        ; implicit-def: $vgpr10
	v_cndmask_b32_e32 v9, v6, v9, vcc_lo
	v_cmp_lt_f32_e32 vcc_lo, v8, v7
	v_cndmask_b32_e32 v8, v7, v8, vcc_lo
.LBB28_989:
	s_or_saveexec_b32 s2, s2
	v_mov_b32_e32 v4, 1
	s_xor_b32 exec_lo, exec_lo, s2
	s_cbranch_execz .LBB28_993
; %bb.990:
	v_and_b32_e32 v4, 1, v10
	s_mov_b32 s3, exec_lo
	s_delay_alu instid0(VALU_DEP_1)
	v_cmpx_eq_u32_e32 1, v4
	s_cbranch_execz .LBB28_992
; %bb.991:
	s_wait_dscnt 0x0
	v_mov_b64_e32 v[8:9], v[2:3]
	v_mov_b32_e32 v12, 1
.LBB28_992:
	s_or_b32 exec_lo, exec_lo, s3
	s_delay_alu instid0(VALU_DEP_1)
	v_mov_b32_e32 v4, v12
.LBB28_993:
	s_or_b32 exec_lo, exec_lo, s2
	s_wait_dscnt 0x0
	s_delay_alu instid0(VALU_DEP_3) | instskip(NEXT) | instid1(VALU_DEP_2)
	v_mov_b64_e32 v[2:3], v[8:9]
	v_and_b32_e32 v10, 0xff, v4
	v_dual_mov_b32 v4, v8 :: v_dual_mov_b32 v5, v9
.LBB28_994:
	s_or_b32 exec_lo, exec_lo, s1
	v_cmp_gt_u32_e32 vcc_lo, 28, v1
	s_wait_dscnt 0x0
	v_add_nc_u32_e32 v9, 4, v1
	s_mov_b32 s1, exec_lo
	v_cndmask_b32_e64 v6, 0, 4, vcc_lo
	s_delay_alu instid0(VALU_DEP_1)
	v_add_lshl_u32 v7, v6, v1, 2
	ds_bpermute_b32 v8, v7, v10
	ds_bpermute_b32 v6, v7, v4
	;; [unrolled: 1-line block ×3, first 2 shown]
	v_cmpx_lt_u32_e64 v9, v11
	s_cbranch_execz .LBB28_1002
; %bb.995:
	s_wait_dscnt 0x2
	v_and_b32_e32 v4, v10, v8
	s_mov_b32 s2, exec_lo
	s_delay_alu instid0(VALU_DEP_1) | instskip(NEXT) | instid1(VALU_DEP_1)
	v_and_b32_e32 v4, 1, v4
	v_cmpx_eq_u32_e32 1, v4
	s_xor_b32 s2, exec_lo, s2
	s_cbranch_execz .LBB28_997
; %bb.996:
	s_wait_dscnt 0x1
	v_cmp_gt_f32_e32 vcc_lo, v2, v6
                                        ; implicit-def: $vgpr8
                                        ; implicit-def: $vgpr10
	v_cndmask_b32_e32 v6, v2, v6, vcc_lo
	s_wait_dscnt 0x0
	v_cmp_lt_f32_e32 vcc_lo, v3, v7
	v_cndmask_b32_e32 v7, v3, v7, vcc_lo
                                        ; implicit-def: $vgpr2_vgpr3
.LBB28_997:
	s_or_saveexec_b32 s2, s2
	v_mov_b32_e32 v4, 1
	s_xor_b32 exec_lo, exec_lo, s2
	s_cbranch_execz .LBB28_1001
; %bb.998:
	v_and_b32_e32 v4, 1, v10
	s_mov_b32 s3, exec_lo
	s_delay_alu instid0(VALU_DEP_1)
	v_cmpx_eq_u32_e32 1, v4
	s_cbranch_execz .LBB28_1000
; %bb.999:
	s_wait_dscnt 0x0
	v_mov_b64_e32 v[6:7], v[2:3]
	v_mov_b32_e32 v8, 1
.LBB28_1000:
	s_or_b32 exec_lo, exec_lo, s3
	s_delay_alu instid0(VALU_DEP_1)
	v_mov_b32_e32 v4, v8
.LBB28_1001:
	s_or_b32 exec_lo, exec_lo, s2
	s_wait_dscnt 0x0
	s_delay_alu instid0(VALU_DEP_3) | instskip(NEXT) | instid1(VALU_DEP_2)
	v_mov_b64_e32 v[2:3], v[6:7]
	v_and_b32_e32 v10, 0xff, v4
	v_dual_mov_b32 v4, v6 :: v_dual_mov_b32 v5, v7
.LBB28_1002:
	s_or_b32 exec_lo, exec_lo, s1
	v_cmp_gt_u32_e32 vcc_lo, 24, v1
	v_add_nc_u32_e32 v9, 8, v1
	s_mov_b32 s1, exec_lo
	s_wait_dscnt 0x1
	v_cndmask_b32_e64 v6, 0, 8, vcc_lo
	s_wait_dscnt 0x0
	s_delay_alu instid0(VALU_DEP_1)
	v_add_lshl_u32 v7, v6, v1, 2
	ds_bpermute_b32 v8, v7, v10
	ds_bpermute_b32 v6, v7, v4
	;; [unrolled: 1-line block ×3, first 2 shown]
	v_cmpx_lt_u32_e64 v9, v11
	s_cbranch_execz .LBB28_1010
; %bb.1003:
	s_wait_dscnt 0x2
	v_and_b32_e32 v4, v10, v8
	s_mov_b32 s2, exec_lo
	s_delay_alu instid0(VALU_DEP_1) | instskip(NEXT) | instid1(VALU_DEP_1)
	v_and_b32_e32 v4, 1, v4
	v_cmpx_eq_u32_e32 1, v4
	s_xor_b32 s2, exec_lo, s2
	s_cbranch_execz .LBB28_1005
; %bb.1004:
	s_wait_dscnt 0x0
	v_cmp_gt_f32_e32 vcc_lo, v7, v3
                                        ; implicit-def: $vgpr8
                                        ; implicit-def: $vgpr10
	v_cndmask_b32_e32 v7, v3, v7, vcc_lo
	v_cmp_gt_f32_e32 vcc_lo, v2, v6
	v_cndmask_b32_e32 v6, v2, v6, vcc_lo
                                        ; implicit-def: $vgpr2_vgpr3
.LBB28_1005:
	s_or_saveexec_b32 s2, s2
	v_mov_b32_e32 v4, 1
	s_xor_b32 exec_lo, exec_lo, s2
	s_cbranch_execz .LBB28_1009
; %bb.1006:
	v_and_b32_e32 v4, 1, v10
	s_mov_b32 s3, exec_lo
	s_delay_alu instid0(VALU_DEP_1)
	v_cmpx_eq_u32_e32 1, v4
	s_cbranch_execz .LBB28_1008
; %bb.1007:
	s_wait_dscnt 0x0
	v_mov_b64_e32 v[6:7], v[2:3]
	v_mov_b32_e32 v8, 1
.LBB28_1008:
	s_or_b32 exec_lo, exec_lo, s3
	s_delay_alu instid0(VALU_DEP_1)
	v_mov_b32_e32 v4, v8
.LBB28_1009:
	s_or_b32 exec_lo, exec_lo, s2
	s_wait_dscnt 0x0
	s_delay_alu instid0(VALU_DEP_3) | instskip(NEXT) | instid1(VALU_DEP_2)
	v_mov_b64_e32 v[2:3], v[6:7]
	v_and_b32_e32 v10, 0xff, v4
	v_dual_mov_b32 v4, v6 :: v_dual_mov_b32 v5, v7
.LBB28_1010:
	s_or_b32 exec_lo, exec_lo, s1
	s_wait_dscnt 0x1
	v_lshlrev_b32_e32 v6, 2, v1
	s_delay_alu instid0(VALU_DEP_1)
	v_or_b32_e32 v8, 64, v6
	s_wait_dscnt 0x0
	ds_bpermute_b32 v7, v8, v10
	ds_bpermute_b32 v4, v8, v4
	;; [unrolled: 1-line block ×3, first 2 shown]
	v_add_nc_u32_e32 v8, 16, v1
	s_delay_alu instid0(VALU_DEP_1)
	v_cmp_lt_u32_e32 vcc_lo, v8, v11
	v_mov_b32_e32 v8, v10
	s_and_saveexec_b32 s1, vcc_lo
	s_cbranch_execz .LBB28_1018
; %bb.1011:
	s_wait_dscnt 0x2
	v_and_b32_e32 v8, v10, v7
	s_mov_b32 s2, exec_lo
	s_delay_alu instid0(VALU_DEP_1) | instskip(NEXT) | instid1(VALU_DEP_1)
	v_and_b32_e32 v8, 1, v8
	v_cmpx_eq_u32_e32 1, v8
	s_xor_b32 s2, exec_lo, s2
	s_cbranch_execz .LBB28_1013
; %bb.1012:
	s_wait_dscnt 0x0
	v_cmp_gt_f32_e32 vcc_lo, v5, v3
                                        ; implicit-def: $vgpr7
                                        ; implicit-def: $vgpr10
	v_cndmask_b32_e32 v5, v3, v5, vcc_lo
	v_cmp_gt_f32_e32 vcc_lo, v2, v4
	v_cndmask_b32_e32 v4, v2, v4, vcc_lo
                                        ; implicit-def: $vgpr2_vgpr3
.LBB28_1013:
	s_or_saveexec_b32 s2, s2
	v_mov_b32_e32 v8, 1
	s_xor_b32 exec_lo, exec_lo, s2
	s_cbranch_execz .LBB28_1017
; %bb.1014:
	v_and_b32_e32 v8, 1, v10
	s_mov_b32 s3, exec_lo
	s_delay_alu instid0(VALU_DEP_1)
	v_cmpx_eq_u32_e32 1, v8
	s_cbranch_execz .LBB28_1016
; %bb.1015:
	s_wait_dscnt 0x0
	v_mov_b64_e32 v[4:5], v[2:3]
	v_mov_b32_e32 v7, 1
.LBB28_1016:
	s_or_b32 exec_lo, exec_lo, s3
	s_delay_alu instid0(VALU_DEP_1)
	v_mov_b32_e32 v8, v7
.LBB28_1017:
	s_or_b32 exec_lo, exec_lo, s2
	s_wait_dscnt 0x0
	s_delay_alu instid0(VALU_DEP_3) | instskip(NEXT) | instid1(VALU_DEP_2)
	v_mov_b64_e32 v[2:3], v[4:5]
	v_and_b32_e32 v10, 0xff, v8
.LBB28_1018:
	s_or_b32 exec_lo, exec_lo, s1
	s_delay_alu instid0(SALU_CYCLE_1)
	s_mov_b32 s1, exec_lo
	v_cmpx_eq_u32_e32 0, v1
	s_cbranch_execz .LBB28_1020
; %bb.1019:
	s_wait_dscnt 0x1
	v_lshrrev_b32_e32 v4, 5, v0
	s_delay_alu instid0(VALU_DEP_1)
	v_mul_u32_u24_e32 v4, 12, v4
	ds_store_b8 v4, v8
	ds_store_2addr_b32 v4, v2, v3 offset0:1 offset1:2
.LBB28_1020:
	s_or_b32 exec_lo, exec_lo, s1
	s_delay_alu instid0(SALU_CYCLE_1)
	s_mov_b32 s1, exec_lo
	s_wait_dscnt 0x0
	s_barrier_signal -1
	s_barrier_wait -1
	v_cmpx_gt_u32_e32 4, v0
	s_cbranch_execz .LBB28_1038
; %bb.1021:
	v_mul_u32_u24_e32 v2, 12, v1
	v_and_b32_e32 v7, 3, v1
	s_add_co_i32 s0, s0, 31
	ds_load_u8 v8, v2
	ds_load_2addr_b32 v[2:3], v2 offset0:1 offset1:2
	v_cmp_ne_u32_e32 vcc_lo, 3, v7
	s_lshr_b32 s0, s0, 5
	v_add_co_ci_u32_e64 v1, null, 0, v1, vcc_lo
	s_delay_alu instid0(VALU_DEP_1)
	v_dual_lshlrev_b32 v5, 2, v1 :: v_dual_add_nc_u32 v9, 1, v7
	s_wait_dscnt 0x1
	v_and_b32_e32 v10, 0xff, v8
	s_wait_dscnt 0x0
	ds_bpermute_b32 v4, v5, v2
	v_mov_b32_e32 v11, v3
	v_cmp_gt_u32_e32 vcc_lo, s0, v9
	v_mov_b32_e32 v9, v2
	ds_bpermute_b32 v1, v5, v10
	ds_bpermute_b32 v5, v5, v3
	s_and_saveexec_b32 s2, vcc_lo
	s_cbranch_execz .LBB28_1029
; %bb.1022:
	s_wait_dscnt 0x1
	v_and_b32_e32 v9, v10, v1
	s_mov_b32 s3, exec_lo
	s_delay_alu instid0(VALU_DEP_1) | instskip(NEXT) | instid1(VALU_DEP_1)
	v_and_b32_e32 v9, 1, v9
	v_cmpx_eq_u32_e32 1, v9
	s_xor_b32 s3, exec_lo, s3
	s_cbranch_execz .LBB28_1024
; %bb.1023:
	s_wait_dscnt 0x0
	v_cmp_gt_f32_e32 vcc_lo, v5, v3
                                        ; implicit-def: $vgpr1
                                        ; implicit-def: $vgpr8
	v_cndmask_b32_e32 v5, v3, v5, vcc_lo
	v_cmp_gt_f32_e32 vcc_lo, v2, v4
	v_cndmask_b32_e32 v4, v2, v4, vcc_lo
                                        ; implicit-def: $vgpr2_vgpr3
.LBB28_1024:
	s_or_saveexec_b32 s3, s3
	v_mov_b32_e32 v9, 1
	s_xor_b32 exec_lo, exec_lo, s3
	s_cbranch_execz .LBB28_1028
; %bb.1025:
	v_and_b32_e32 v8, 1, v8
	s_mov_b32 s4, exec_lo
	s_delay_alu instid0(VALU_DEP_1)
	v_cmpx_eq_u32_e32 1, v8
	s_cbranch_execz .LBB28_1027
; %bb.1026:
	s_wait_dscnt 0x0
	v_mov_b64_e32 v[4:5], v[2:3]
	v_mov_b32_e32 v1, 1
.LBB28_1027:
	s_or_b32 exec_lo, exec_lo, s4
	s_delay_alu instid0(VALU_DEP_1)
	v_mov_b32_e32 v9, v1
.LBB28_1028:
	s_or_b32 exec_lo, exec_lo, s3
	s_wait_dscnt 0x0
	s_delay_alu instid0(VALU_DEP_3) | instskip(NEXT) | instid1(VALU_DEP_2)
	v_mov_b64_e32 v[2:3], v[4:5]
	v_and_b32_e32 v10, 0xff, v9
	v_dual_mov_b32 v9, v4 :: v_dual_mov_b32 v11, v5
.LBB28_1029:
	s_or_b32 exec_lo, exec_lo, s2
	s_wait_dscnt 0x0
	v_dual_add_nc_u32 v6, 2, v7 :: v_dual_bitop2_b32 v5, 8, v6 bitop3:0x54
	ds_bpermute_b32 v1, v5, v10
	ds_bpermute_b32 v4, v5, v9
	;; [unrolled: 1-line block ×3, first 2 shown]
	v_cmp_gt_u32_e32 vcc_lo, s0, v6
	s_and_saveexec_b32 s0, vcc_lo
	s_cbranch_execz .LBB28_1037
; %bb.1030:
	s_wait_dscnt 0x2
	v_and_b32_e32 v6, v10, v1
	s_mov_b32 s2, exec_lo
	s_delay_alu instid0(VALU_DEP_1) | instskip(NEXT) | instid1(VALU_DEP_1)
	v_and_b32_e32 v6, 1, v6
	v_cmpx_eq_u32_e32 1, v6
	s_xor_b32 s2, exec_lo, s2
	s_cbranch_execz .LBB28_1032
; %bb.1031:
	s_wait_dscnt 0x0
	v_cmp_gt_f32_e32 vcc_lo, v5, v3
                                        ; implicit-def: $vgpr1
                                        ; implicit-def: $vgpr10
	v_cndmask_b32_e32 v5, v3, v5, vcc_lo
	v_cmp_gt_f32_e32 vcc_lo, v2, v4
	v_cndmask_b32_e32 v4, v2, v4, vcc_lo
                                        ; implicit-def: $vgpr2_vgpr3
.LBB28_1032:
	s_or_saveexec_b32 s2, s2
	v_mov_b32_e32 v6, 1
	s_xor_b32 exec_lo, exec_lo, s2
	s_cbranch_execz .LBB28_1036
; %bb.1033:
	v_and_b32_e32 v6, 1, v10
	s_mov_b32 s3, exec_lo
	s_delay_alu instid0(VALU_DEP_1)
	v_cmpx_eq_u32_e32 1, v6
	s_cbranch_execz .LBB28_1035
; %bb.1034:
	s_wait_dscnt 0x0
	v_mov_b64_e32 v[4:5], v[2:3]
	v_mov_b32_e32 v1, 1
.LBB28_1035:
	s_or_b32 exec_lo, exec_lo, s3
	s_delay_alu instid0(VALU_DEP_1)
	v_mov_b32_e32 v6, v1
.LBB28_1036:
	s_or_b32 exec_lo, exec_lo, s2
	s_wait_dscnt 0x0
	s_delay_alu instid0(VALU_DEP_3) | instskip(NEXT) | instid1(VALU_DEP_2)
	v_mov_b64_e32 v[2:3], v[4:5]
	v_mov_b32_e32 v10, v6
.LBB28_1037:
	s_or_b32 exec_lo, exec_lo, s0
.LBB28_1038:
	s_delay_alu instid0(SALU_CYCLE_1)
	s_or_b32 exec_lo, exec_lo, s1
.LBB28_1039:
	s_delay_alu instid0(SALU_CYCLE_1)
	s_mov_b32 s0, exec_lo
                                        ; implicit-def: $vgpr4_vgpr5
                                        ; implicit-def: $vgpr6
	v_cmpx_eq_u32_e32 0, v0
	s_cbranch_execz .LBB28_1047
; %bb.1040:
	s_wait_dscnt 0x0
	v_mov_b64_e32 v[4:5], s[24:25]
	v_mov_b32_e32 v6, s30
	s_cmp_eq_u64 s[20:21], 0
	s_cbranch_scc1 .LBB28_1046
; %bb.1041:
	v_and_b32_e32 v0, 1, v10
	s_bitcmp1_b32 s30, 0
                                        ; implicit-def: $vgpr4_vgpr5
                                        ; implicit-def: $vgpr6
	s_cselect_b32 s2, -1, 0
	s_delay_alu instid0(VALU_DEP_1) | instskip(SKIP_1) | instid1(SALU_CYCLE_1)
	v_cmp_eq_u32_e32 vcc_lo, 1, v0
	s_and_b32 s1, s2, vcc_lo
	s_xor_b32 s1, s1, -1
	s_delay_alu instid0(SALU_CYCLE_1) | instskip(NEXT) | instid1(SALU_CYCLE_1)
	s_and_saveexec_b32 s3, s1
	s_xor_b32 s1, exec_lo, s3
; %bb.1042:
	v_cndmask_b32_e64 v6, v10, 1, s2
	v_cndmask_b32_e64 v5, v3, s25, s2
	v_cndmask_b32_e64 v4, v2, s24, s2
                                        ; implicit-def: $vgpr2_vgpr3
; %bb.1043:
	s_and_not1_saveexec_b32 s1, s1
; %bb.1044:
	v_cmp_lt_f32_e32 vcc_lo, s25, v3
	v_dual_mov_b32 v6, 1 :: v_dual_cndmask_b32 v5, s25, v3
	v_cmp_gt_f32_e32 vcc_lo, s24, v2
	v_cndmask_b32_e32 v4, s24, v2, vcc_lo
; %bb.1045:
	s_or_b32 exec_lo, exec_lo, s1
.LBB28_1046:
	s_delay_alu instid0(SALU_CYCLE_1)
	s_or_b32 s8, s8, exec_lo
.LBB28_1047:
	s_or_b32 exec_lo, exec_lo, s0
	s_and_saveexec_b32 s0, s8
	s_cbranch_execnz .LBB28_971
	s_branch .LBB28_972
	.section	.rodata,"a",@progbits
	.p2align	6, 0x0
	.amdhsa_kernel _ZN7rocprim17ROCPRIM_400000_NS6detail17trampoline_kernelINS0_14default_configENS1_22reduce_config_selectorIN6thrust23THRUST_200600_302600_NS5tupleIbffNS6_9null_typeES8_S8_S8_S8_S8_S8_EEEEZNS1_11reduce_implILb1ES3_NS6_11hip_rocprim26transform_input_iterator_tIS9_NS6_12zip_iteratorINS7_INS6_17counting_iteratorIiNS6_11use_defaultESG_SG_EENS6_6detail15normal_iteratorINS6_10device_ptrIfEEEES8_S8_S8_S8_S8_S8_S8_S8_EEEE15transform_tupleIifEEEPS9_S9_12reduce_tupleIifEEE10hipError_tPvRmT1_T2_T3_mT4_P12ihipStream_tbEUlT_E1_NS1_11comp_targetILNS1_3genE0ELNS1_11target_archE4294967295ELNS1_3gpuE0ELNS1_3repE0EEENS1_30default_config_static_selectorELNS0_4arch9wavefront6targetE0EEEvSY_
		.amdhsa_group_segment_fixed_size 288
		.amdhsa_private_segment_fixed_size 0
		.amdhsa_kernarg_size 64
		.amdhsa_user_sgpr_count 2
		.amdhsa_user_sgpr_dispatch_ptr 0
		.amdhsa_user_sgpr_queue_ptr 0
		.amdhsa_user_sgpr_kernarg_segment_ptr 1
		.amdhsa_user_sgpr_dispatch_id 0
		.amdhsa_user_sgpr_kernarg_preload_length 0
		.amdhsa_user_sgpr_kernarg_preload_offset 0
		.amdhsa_user_sgpr_private_segment_size 0
		.amdhsa_wavefront_size32 1
		.amdhsa_uses_dynamic_stack 0
		.amdhsa_enable_private_segment 0
		.amdhsa_system_sgpr_workgroup_id_x 1
		.amdhsa_system_sgpr_workgroup_id_y 0
		.amdhsa_system_sgpr_workgroup_id_z 0
		.amdhsa_system_sgpr_workgroup_info 0
		.amdhsa_system_vgpr_workitem_id 0
		.amdhsa_next_free_vgpr 35
		.amdhsa_next_free_sgpr 39
		.amdhsa_named_barrier_count 0
		.amdhsa_reserve_vcc 1
		.amdhsa_float_round_mode_32 0
		.amdhsa_float_round_mode_16_64 0
		.amdhsa_float_denorm_mode_32 3
		.amdhsa_float_denorm_mode_16_64 3
		.amdhsa_fp16_overflow 0
		.amdhsa_memory_ordered 1
		.amdhsa_forward_progress 1
		.amdhsa_inst_pref_size 255
		.amdhsa_round_robin_scheduling 0
		.amdhsa_exception_fp_ieee_invalid_op 0
		.amdhsa_exception_fp_denorm_src 0
		.amdhsa_exception_fp_ieee_div_zero 0
		.amdhsa_exception_fp_ieee_overflow 0
		.amdhsa_exception_fp_ieee_underflow 0
		.amdhsa_exception_fp_ieee_inexact 0
		.amdhsa_exception_int_div_zero 0
	.end_amdhsa_kernel
	.section	.text._ZN7rocprim17ROCPRIM_400000_NS6detail17trampoline_kernelINS0_14default_configENS1_22reduce_config_selectorIN6thrust23THRUST_200600_302600_NS5tupleIbffNS6_9null_typeES8_S8_S8_S8_S8_S8_EEEEZNS1_11reduce_implILb1ES3_NS6_11hip_rocprim26transform_input_iterator_tIS9_NS6_12zip_iteratorINS7_INS6_17counting_iteratorIiNS6_11use_defaultESG_SG_EENS6_6detail15normal_iteratorINS6_10device_ptrIfEEEES8_S8_S8_S8_S8_S8_S8_S8_EEEE15transform_tupleIifEEEPS9_S9_12reduce_tupleIifEEE10hipError_tPvRmT1_T2_T3_mT4_P12ihipStream_tbEUlT_E1_NS1_11comp_targetILNS1_3genE0ELNS1_11target_archE4294967295ELNS1_3gpuE0ELNS1_3repE0EEENS1_30default_config_static_selectorELNS0_4arch9wavefront6targetE0EEEvSY_,"axG",@progbits,_ZN7rocprim17ROCPRIM_400000_NS6detail17trampoline_kernelINS0_14default_configENS1_22reduce_config_selectorIN6thrust23THRUST_200600_302600_NS5tupleIbffNS6_9null_typeES8_S8_S8_S8_S8_S8_EEEEZNS1_11reduce_implILb1ES3_NS6_11hip_rocprim26transform_input_iterator_tIS9_NS6_12zip_iteratorINS7_INS6_17counting_iteratorIiNS6_11use_defaultESG_SG_EENS6_6detail15normal_iteratorINS6_10device_ptrIfEEEES8_S8_S8_S8_S8_S8_S8_S8_EEEE15transform_tupleIifEEEPS9_S9_12reduce_tupleIifEEE10hipError_tPvRmT1_T2_T3_mT4_P12ihipStream_tbEUlT_E1_NS1_11comp_targetILNS1_3genE0ELNS1_11target_archE4294967295ELNS1_3gpuE0ELNS1_3repE0EEENS1_30default_config_static_selectorELNS0_4arch9wavefront6targetE0EEEvSY_,comdat
.Lfunc_end28:
	.size	_ZN7rocprim17ROCPRIM_400000_NS6detail17trampoline_kernelINS0_14default_configENS1_22reduce_config_selectorIN6thrust23THRUST_200600_302600_NS5tupleIbffNS6_9null_typeES8_S8_S8_S8_S8_S8_EEEEZNS1_11reduce_implILb1ES3_NS6_11hip_rocprim26transform_input_iterator_tIS9_NS6_12zip_iteratorINS7_INS6_17counting_iteratorIiNS6_11use_defaultESG_SG_EENS6_6detail15normal_iteratorINS6_10device_ptrIfEEEES8_S8_S8_S8_S8_S8_S8_S8_EEEE15transform_tupleIifEEEPS9_S9_12reduce_tupleIifEEE10hipError_tPvRmT1_T2_T3_mT4_P12ihipStream_tbEUlT_E1_NS1_11comp_targetILNS1_3genE0ELNS1_11target_archE4294967295ELNS1_3gpuE0ELNS1_3repE0EEENS1_30default_config_static_selectorELNS0_4arch9wavefront6targetE0EEEvSY_, .Lfunc_end28-_ZN7rocprim17ROCPRIM_400000_NS6detail17trampoline_kernelINS0_14default_configENS1_22reduce_config_selectorIN6thrust23THRUST_200600_302600_NS5tupleIbffNS6_9null_typeES8_S8_S8_S8_S8_S8_EEEEZNS1_11reduce_implILb1ES3_NS6_11hip_rocprim26transform_input_iterator_tIS9_NS6_12zip_iteratorINS7_INS6_17counting_iteratorIiNS6_11use_defaultESG_SG_EENS6_6detail15normal_iteratorINS6_10device_ptrIfEEEES8_S8_S8_S8_S8_S8_S8_S8_EEEE15transform_tupleIifEEEPS9_S9_12reduce_tupleIifEEE10hipError_tPvRmT1_T2_T3_mT4_P12ihipStream_tbEUlT_E1_NS1_11comp_targetILNS1_3genE0ELNS1_11target_archE4294967295ELNS1_3gpuE0ELNS1_3repE0EEENS1_30default_config_static_selectorELNS0_4arch9wavefront6targetE0EEEvSY_
                                        ; -- End function
	.set _ZN7rocprim17ROCPRIM_400000_NS6detail17trampoline_kernelINS0_14default_configENS1_22reduce_config_selectorIN6thrust23THRUST_200600_302600_NS5tupleIbffNS6_9null_typeES8_S8_S8_S8_S8_S8_EEEEZNS1_11reduce_implILb1ES3_NS6_11hip_rocprim26transform_input_iterator_tIS9_NS6_12zip_iteratorINS7_INS6_17counting_iteratorIiNS6_11use_defaultESG_SG_EENS6_6detail15normal_iteratorINS6_10device_ptrIfEEEES8_S8_S8_S8_S8_S8_S8_S8_EEEE15transform_tupleIifEEEPS9_S9_12reduce_tupleIifEEE10hipError_tPvRmT1_T2_T3_mT4_P12ihipStream_tbEUlT_E1_NS1_11comp_targetILNS1_3genE0ELNS1_11target_archE4294967295ELNS1_3gpuE0ELNS1_3repE0EEENS1_30default_config_static_selectorELNS0_4arch9wavefront6targetE0EEEvSY_.num_vgpr, 35
	.set _ZN7rocprim17ROCPRIM_400000_NS6detail17trampoline_kernelINS0_14default_configENS1_22reduce_config_selectorIN6thrust23THRUST_200600_302600_NS5tupleIbffNS6_9null_typeES8_S8_S8_S8_S8_S8_EEEEZNS1_11reduce_implILb1ES3_NS6_11hip_rocprim26transform_input_iterator_tIS9_NS6_12zip_iteratorINS7_INS6_17counting_iteratorIiNS6_11use_defaultESG_SG_EENS6_6detail15normal_iteratorINS6_10device_ptrIfEEEES8_S8_S8_S8_S8_S8_S8_S8_EEEE15transform_tupleIifEEEPS9_S9_12reduce_tupleIifEEE10hipError_tPvRmT1_T2_T3_mT4_P12ihipStream_tbEUlT_E1_NS1_11comp_targetILNS1_3genE0ELNS1_11target_archE4294967295ELNS1_3gpuE0ELNS1_3repE0EEENS1_30default_config_static_selectorELNS0_4arch9wavefront6targetE0EEEvSY_.num_agpr, 0
	.set _ZN7rocprim17ROCPRIM_400000_NS6detail17trampoline_kernelINS0_14default_configENS1_22reduce_config_selectorIN6thrust23THRUST_200600_302600_NS5tupleIbffNS6_9null_typeES8_S8_S8_S8_S8_S8_EEEEZNS1_11reduce_implILb1ES3_NS6_11hip_rocprim26transform_input_iterator_tIS9_NS6_12zip_iteratorINS7_INS6_17counting_iteratorIiNS6_11use_defaultESG_SG_EENS6_6detail15normal_iteratorINS6_10device_ptrIfEEEES8_S8_S8_S8_S8_S8_S8_S8_EEEE15transform_tupleIifEEEPS9_S9_12reduce_tupleIifEEE10hipError_tPvRmT1_T2_T3_mT4_P12ihipStream_tbEUlT_E1_NS1_11comp_targetILNS1_3genE0ELNS1_11target_archE4294967295ELNS1_3gpuE0ELNS1_3repE0EEENS1_30default_config_static_selectorELNS0_4arch9wavefront6targetE0EEEvSY_.numbered_sgpr, 39
	.set _ZN7rocprim17ROCPRIM_400000_NS6detail17trampoline_kernelINS0_14default_configENS1_22reduce_config_selectorIN6thrust23THRUST_200600_302600_NS5tupleIbffNS6_9null_typeES8_S8_S8_S8_S8_S8_EEEEZNS1_11reduce_implILb1ES3_NS6_11hip_rocprim26transform_input_iterator_tIS9_NS6_12zip_iteratorINS7_INS6_17counting_iteratorIiNS6_11use_defaultESG_SG_EENS6_6detail15normal_iteratorINS6_10device_ptrIfEEEES8_S8_S8_S8_S8_S8_S8_S8_EEEE15transform_tupleIifEEEPS9_S9_12reduce_tupleIifEEE10hipError_tPvRmT1_T2_T3_mT4_P12ihipStream_tbEUlT_E1_NS1_11comp_targetILNS1_3genE0ELNS1_11target_archE4294967295ELNS1_3gpuE0ELNS1_3repE0EEENS1_30default_config_static_selectorELNS0_4arch9wavefront6targetE0EEEvSY_.num_named_barrier, 0
	.set _ZN7rocprim17ROCPRIM_400000_NS6detail17trampoline_kernelINS0_14default_configENS1_22reduce_config_selectorIN6thrust23THRUST_200600_302600_NS5tupleIbffNS6_9null_typeES8_S8_S8_S8_S8_S8_EEEEZNS1_11reduce_implILb1ES3_NS6_11hip_rocprim26transform_input_iterator_tIS9_NS6_12zip_iteratorINS7_INS6_17counting_iteratorIiNS6_11use_defaultESG_SG_EENS6_6detail15normal_iteratorINS6_10device_ptrIfEEEES8_S8_S8_S8_S8_S8_S8_S8_EEEE15transform_tupleIifEEEPS9_S9_12reduce_tupleIifEEE10hipError_tPvRmT1_T2_T3_mT4_P12ihipStream_tbEUlT_E1_NS1_11comp_targetILNS1_3genE0ELNS1_11target_archE4294967295ELNS1_3gpuE0ELNS1_3repE0EEENS1_30default_config_static_selectorELNS0_4arch9wavefront6targetE0EEEvSY_.private_seg_size, 0
	.set _ZN7rocprim17ROCPRIM_400000_NS6detail17trampoline_kernelINS0_14default_configENS1_22reduce_config_selectorIN6thrust23THRUST_200600_302600_NS5tupleIbffNS6_9null_typeES8_S8_S8_S8_S8_S8_EEEEZNS1_11reduce_implILb1ES3_NS6_11hip_rocprim26transform_input_iterator_tIS9_NS6_12zip_iteratorINS7_INS6_17counting_iteratorIiNS6_11use_defaultESG_SG_EENS6_6detail15normal_iteratorINS6_10device_ptrIfEEEES8_S8_S8_S8_S8_S8_S8_S8_EEEE15transform_tupleIifEEEPS9_S9_12reduce_tupleIifEEE10hipError_tPvRmT1_T2_T3_mT4_P12ihipStream_tbEUlT_E1_NS1_11comp_targetILNS1_3genE0ELNS1_11target_archE4294967295ELNS1_3gpuE0ELNS1_3repE0EEENS1_30default_config_static_selectorELNS0_4arch9wavefront6targetE0EEEvSY_.uses_vcc, 1
	.set _ZN7rocprim17ROCPRIM_400000_NS6detail17trampoline_kernelINS0_14default_configENS1_22reduce_config_selectorIN6thrust23THRUST_200600_302600_NS5tupleIbffNS6_9null_typeES8_S8_S8_S8_S8_S8_EEEEZNS1_11reduce_implILb1ES3_NS6_11hip_rocprim26transform_input_iterator_tIS9_NS6_12zip_iteratorINS7_INS6_17counting_iteratorIiNS6_11use_defaultESG_SG_EENS6_6detail15normal_iteratorINS6_10device_ptrIfEEEES8_S8_S8_S8_S8_S8_S8_S8_EEEE15transform_tupleIifEEEPS9_S9_12reduce_tupleIifEEE10hipError_tPvRmT1_T2_T3_mT4_P12ihipStream_tbEUlT_E1_NS1_11comp_targetILNS1_3genE0ELNS1_11target_archE4294967295ELNS1_3gpuE0ELNS1_3repE0EEENS1_30default_config_static_selectorELNS0_4arch9wavefront6targetE0EEEvSY_.uses_flat_scratch, 0
	.set _ZN7rocprim17ROCPRIM_400000_NS6detail17trampoline_kernelINS0_14default_configENS1_22reduce_config_selectorIN6thrust23THRUST_200600_302600_NS5tupleIbffNS6_9null_typeES8_S8_S8_S8_S8_S8_EEEEZNS1_11reduce_implILb1ES3_NS6_11hip_rocprim26transform_input_iterator_tIS9_NS6_12zip_iteratorINS7_INS6_17counting_iteratorIiNS6_11use_defaultESG_SG_EENS6_6detail15normal_iteratorINS6_10device_ptrIfEEEES8_S8_S8_S8_S8_S8_S8_S8_EEEE15transform_tupleIifEEEPS9_S9_12reduce_tupleIifEEE10hipError_tPvRmT1_T2_T3_mT4_P12ihipStream_tbEUlT_E1_NS1_11comp_targetILNS1_3genE0ELNS1_11target_archE4294967295ELNS1_3gpuE0ELNS1_3repE0EEENS1_30default_config_static_selectorELNS0_4arch9wavefront6targetE0EEEvSY_.has_dyn_sized_stack, 0
	.set _ZN7rocprim17ROCPRIM_400000_NS6detail17trampoline_kernelINS0_14default_configENS1_22reduce_config_selectorIN6thrust23THRUST_200600_302600_NS5tupleIbffNS6_9null_typeES8_S8_S8_S8_S8_S8_EEEEZNS1_11reduce_implILb1ES3_NS6_11hip_rocprim26transform_input_iterator_tIS9_NS6_12zip_iteratorINS7_INS6_17counting_iteratorIiNS6_11use_defaultESG_SG_EENS6_6detail15normal_iteratorINS6_10device_ptrIfEEEES8_S8_S8_S8_S8_S8_S8_S8_EEEE15transform_tupleIifEEEPS9_S9_12reduce_tupleIifEEE10hipError_tPvRmT1_T2_T3_mT4_P12ihipStream_tbEUlT_E1_NS1_11comp_targetILNS1_3genE0ELNS1_11target_archE4294967295ELNS1_3gpuE0ELNS1_3repE0EEENS1_30default_config_static_selectorELNS0_4arch9wavefront6targetE0EEEvSY_.has_recursion, 0
	.set _ZN7rocprim17ROCPRIM_400000_NS6detail17trampoline_kernelINS0_14default_configENS1_22reduce_config_selectorIN6thrust23THRUST_200600_302600_NS5tupleIbffNS6_9null_typeES8_S8_S8_S8_S8_S8_EEEEZNS1_11reduce_implILb1ES3_NS6_11hip_rocprim26transform_input_iterator_tIS9_NS6_12zip_iteratorINS7_INS6_17counting_iteratorIiNS6_11use_defaultESG_SG_EENS6_6detail15normal_iteratorINS6_10device_ptrIfEEEES8_S8_S8_S8_S8_S8_S8_S8_EEEE15transform_tupleIifEEEPS9_S9_12reduce_tupleIifEEE10hipError_tPvRmT1_T2_T3_mT4_P12ihipStream_tbEUlT_E1_NS1_11comp_targetILNS1_3genE0ELNS1_11target_archE4294967295ELNS1_3gpuE0ELNS1_3repE0EEENS1_30default_config_static_selectorELNS0_4arch9wavefront6targetE0EEEvSY_.has_indirect_call, 0
	.section	.AMDGPU.csdata,"",@progbits
; Kernel info:
; codeLenInByte = 34284
; TotalNumSgprs: 41
; NumVgprs: 35
; ScratchSize: 0
; MemoryBound: 0
; FloatMode: 240
; IeeeMode: 1
; LDSByteSize: 288 bytes/workgroup (compile time only)
; SGPRBlocks: 0
; VGPRBlocks: 2
; NumSGPRsForWavesPerEU: 41
; NumVGPRsForWavesPerEU: 35
; NamedBarCnt: 0
; Occupancy: 16
; WaveLimiterHint : 1
; COMPUTE_PGM_RSRC2:SCRATCH_EN: 0
; COMPUTE_PGM_RSRC2:USER_SGPR: 2
; COMPUTE_PGM_RSRC2:TRAP_HANDLER: 0
; COMPUTE_PGM_RSRC2:TGID_X_EN: 1
; COMPUTE_PGM_RSRC2:TGID_Y_EN: 0
; COMPUTE_PGM_RSRC2:TGID_Z_EN: 0
; COMPUTE_PGM_RSRC2:TIDIG_COMP_CNT: 0
	.section	.text._ZN7rocprim17ROCPRIM_400000_NS6detail17trampoline_kernelINS0_14default_configENS1_22reduce_config_selectorIN6thrust23THRUST_200600_302600_NS5tupleIbffNS6_9null_typeES8_S8_S8_S8_S8_S8_EEEEZNS1_11reduce_implILb1ES3_NS6_11hip_rocprim26transform_input_iterator_tIS9_NS6_12zip_iteratorINS7_INS6_17counting_iteratorIiNS6_11use_defaultESG_SG_EENS6_6detail15normal_iteratorINS6_10device_ptrIfEEEES8_S8_S8_S8_S8_S8_S8_S8_EEEE15transform_tupleIifEEEPS9_S9_12reduce_tupleIifEEE10hipError_tPvRmT1_T2_T3_mT4_P12ihipStream_tbEUlT_E1_NS1_11comp_targetILNS1_3genE5ELNS1_11target_archE942ELNS1_3gpuE9ELNS1_3repE0EEENS1_30default_config_static_selectorELNS0_4arch9wavefront6targetE0EEEvSY_,"axG",@progbits,_ZN7rocprim17ROCPRIM_400000_NS6detail17trampoline_kernelINS0_14default_configENS1_22reduce_config_selectorIN6thrust23THRUST_200600_302600_NS5tupleIbffNS6_9null_typeES8_S8_S8_S8_S8_S8_EEEEZNS1_11reduce_implILb1ES3_NS6_11hip_rocprim26transform_input_iterator_tIS9_NS6_12zip_iteratorINS7_INS6_17counting_iteratorIiNS6_11use_defaultESG_SG_EENS6_6detail15normal_iteratorINS6_10device_ptrIfEEEES8_S8_S8_S8_S8_S8_S8_S8_EEEE15transform_tupleIifEEEPS9_S9_12reduce_tupleIifEEE10hipError_tPvRmT1_T2_T3_mT4_P12ihipStream_tbEUlT_E1_NS1_11comp_targetILNS1_3genE5ELNS1_11target_archE942ELNS1_3gpuE9ELNS1_3repE0EEENS1_30default_config_static_selectorELNS0_4arch9wavefront6targetE0EEEvSY_,comdat
	.protected	_ZN7rocprim17ROCPRIM_400000_NS6detail17trampoline_kernelINS0_14default_configENS1_22reduce_config_selectorIN6thrust23THRUST_200600_302600_NS5tupleIbffNS6_9null_typeES8_S8_S8_S8_S8_S8_EEEEZNS1_11reduce_implILb1ES3_NS6_11hip_rocprim26transform_input_iterator_tIS9_NS6_12zip_iteratorINS7_INS6_17counting_iteratorIiNS6_11use_defaultESG_SG_EENS6_6detail15normal_iteratorINS6_10device_ptrIfEEEES8_S8_S8_S8_S8_S8_S8_S8_EEEE15transform_tupleIifEEEPS9_S9_12reduce_tupleIifEEE10hipError_tPvRmT1_T2_T3_mT4_P12ihipStream_tbEUlT_E1_NS1_11comp_targetILNS1_3genE5ELNS1_11target_archE942ELNS1_3gpuE9ELNS1_3repE0EEENS1_30default_config_static_selectorELNS0_4arch9wavefront6targetE0EEEvSY_ ; -- Begin function _ZN7rocprim17ROCPRIM_400000_NS6detail17trampoline_kernelINS0_14default_configENS1_22reduce_config_selectorIN6thrust23THRUST_200600_302600_NS5tupleIbffNS6_9null_typeES8_S8_S8_S8_S8_S8_EEEEZNS1_11reduce_implILb1ES3_NS6_11hip_rocprim26transform_input_iterator_tIS9_NS6_12zip_iteratorINS7_INS6_17counting_iteratorIiNS6_11use_defaultESG_SG_EENS6_6detail15normal_iteratorINS6_10device_ptrIfEEEES8_S8_S8_S8_S8_S8_S8_S8_EEEE15transform_tupleIifEEEPS9_S9_12reduce_tupleIifEEE10hipError_tPvRmT1_T2_T3_mT4_P12ihipStream_tbEUlT_E1_NS1_11comp_targetILNS1_3genE5ELNS1_11target_archE942ELNS1_3gpuE9ELNS1_3repE0EEENS1_30default_config_static_selectorELNS0_4arch9wavefront6targetE0EEEvSY_
	.globl	_ZN7rocprim17ROCPRIM_400000_NS6detail17trampoline_kernelINS0_14default_configENS1_22reduce_config_selectorIN6thrust23THRUST_200600_302600_NS5tupleIbffNS6_9null_typeES8_S8_S8_S8_S8_S8_EEEEZNS1_11reduce_implILb1ES3_NS6_11hip_rocprim26transform_input_iterator_tIS9_NS6_12zip_iteratorINS7_INS6_17counting_iteratorIiNS6_11use_defaultESG_SG_EENS6_6detail15normal_iteratorINS6_10device_ptrIfEEEES8_S8_S8_S8_S8_S8_S8_S8_EEEE15transform_tupleIifEEEPS9_S9_12reduce_tupleIifEEE10hipError_tPvRmT1_T2_T3_mT4_P12ihipStream_tbEUlT_E1_NS1_11comp_targetILNS1_3genE5ELNS1_11target_archE942ELNS1_3gpuE9ELNS1_3repE0EEENS1_30default_config_static_selectorELNS0_4arch9wavefront6targetE0EEEvSY_
	.p2align	8
	.type	_ZN7rocprim17ROCPRIM_400000_NS6detail17trampoline_kernelINS0_14default_configENS1_22reduce_config_selectorIN6thrust23THRUST_200600_302600_NS5tupleIbffNS6_9null_typeES8_S8_S8_S8_S8_S8_EEEEZNS1_11reduce_implILb1ES3_NS6_11hip_rocprim26transform_input_iterator_tIS9_NS6_12zip_iteratorINS7_INS6_17counting_iteratorIiNS6_11use_defaultESG_SG_EENS6_6detail15normal_iteratorINS6_10device_ptrIfEEEES8_S8_S8_S8_S8_S8_S8_S8_EEEE15transform_tupleIifEEEPS9_S9_12reduce_tupleIifEEE10hipError_tPvRmT1_T2_T3_mT4_P12ihipStream_tbEUlT_E1_NS1_11comp_targetILNS1_3genE5ELNS1_11target_archE942ELNS1_3gpuE9ELNS1_3repE0EEENS1_30default_config_static_selectorELNS0_4arch9wavefront6targetE0EEEvSY_,@function
_ZN7rocprim17ROCPRIM_400000_NS6detail17trampoline_kernelINS0_14default_configENS1_22reduce_config_selectorIN6thrust23THRUST_200600_302600_NS5tupleIbffNS6_9null_typeES8_S8_S8_S8_S8_S8_EEEEZNS1_11reduce_implILb1ES3_NS6_11hip_rocprim26transform_input_iterator_tIS9_NS6_12zip_iteratorINS7_INS6_17counting_iteratorIiNS6_11use_defaultESG_SG_EENS6_6detail15normal_iteratorINS6_10device_ptrIfEEEES8_S8_S8_S8_S8_S8_S8_S8_EEEE15transform_tupleIifEEEPS9_S9_12reduce_tupleIifEEE10hipError_tPvRmT1_T2_T3_mT4_P12ihipStream_tbEUlT_E1_NS1_11comp_targetILNS1_3genE5ELNS1_11target_archE942ELNS1_3gpuE9ELNS1_3repE0EEENS1_30default_config_static_selectorELNS0_4arch9wavefront6targetE0EEEvSY_: ; @_ZN7rocprim17ROCPRIM_400000_NS6detail17trampoline_kernelINS0_14default_configENS1_22reduce_config_selectorIN6thrust23THRUST_200600_302600_NS5tupleIbffNS6_9null_typeES8_S8_S8_S8_S8_S8_EEEEZNS1_11reduce_implILb1ES3_NS6_11hip_rocprim26transform_input_iterator_tIS9_NS6_12zip_iteratorINS7_INS6_17counting_iteratorIiNS6_11use_defaultESG_SG_EENS6_6detail15normal_iteratorINS6_10device_ptrIfEEEES8_S8_S8_S8_S8_S8_S8_S8_EEEE15transform_tupleIifEEEPS9_S9_12reduce_tupleIifEEE10hipError_tPvRmT1_T2_T3_mT4_P12ihipStream_tbEUlT_E1_NS1_11comp_targetILNS1_3genE5ELNS1_11target_archE942ELNS1_3gpuE9ELNS1_3repE0EEENS1_30default_config_static_selectorELNS0_4arch9wavefront6targetE0EEEvSY_
; %bb.0:
	.section	.rodata,"a",@progbits
	.p2align	6, 0x0
	.amdhsa_kernel _ZN7rocprim17ROCPRIM_400000_NS6detail17trampoline_kernelINS0_14default_configENS1_22reduce_config_selectorIN6thrust23THRUST_200600_302600_NS5tupleIbffNS6_9null_typeES8_S8_S8_S8_S8_S8_EEEEZNS1_11reduce_implILb1ES3_NS6_11hip_rocprim26transform_input_iterator_tIS9_NS6_12zip_iteratorINS7_INS6_17counting_iteratorIiNS6_11use_defaultESG_SG_EENS6_6detail15normal_iteratorINS6_10device_ptrIfEEEES8_S8_S8_S8_S8_S8_S8_S8_EEEE15transform_tupleIifEEEPS9_S9_12reduce_tupleIifEEE10hipError_tPvRmT1_T2_T3_mT4_P12ihipStream_tbEUlT_E1_NS1_11comp_targetILNS1_3genE5ELNS1_11target_archE942ELNS1_3gpuE9ELNS1_3repE0EEENS1_30default_config_static_selectorELNS0_4arch9wavefront6targetE0EEEvSY_
		.amdhsa_group_segment_fixed_size 0
		.amdhsa_private_segment_fixed_size 0
		.amdhsa_kernarg_size 64
		.amdhsa_user_sgpr_count 2
		.amdhsa_user_sgpr_dispatch_ptr 0
		.amdhsa_user_sgpr_queue_ptr 0
		.amdhsa_user_sgpr_kernarg_segment_ptr 1
		.amdhsa_user_sgpr_dispatch_id 0
		.amdhsa_user_sgpr_kernarg_preload_length 0
		.amdhsa_user_sgpr_kernarg_preload_offset 0
		.amdhsa_user_sgpr_private_segment_size 0
		.amdhsa_wavefront_size32 1
		.amdhsa_uses_dynamic_stack 0
		.amdhsa_enable_private_segment 0
		.amdhsa_system_sgpr_workgroup_id_x 1
		.amdhsa_system_sgpr_workgroup_id_y 0
		.amdhsa_system_sgpr_workgroup_id_z 0
		.amdhsa_system_sgpr_workgroup_info 0
		.amdhsa_system_vgpr_workitem_id 0
		.amdhsa_next_free_vgpr 1
		.amdhsa_next_free_sgpr 1
		.amdhsa_named_barrier_count 0
		.amdhsa_reserve_vcc 0
		.amdhsa_float_round_mode_32 0
		.amdhsa_float_round_mode_16_64 0
		.amdhsa_float_denorm_mode_32 3
		.amdhsa_float_denorm_mode_16_64 3
		.amdhsa_fp16_overflow 0
		.amdhsa_memory_ordered 1
		.amdhsa_forward_progress 1
		.amdhsa_inst_pref_size 0
		.amdhsa_round_robin_scheduling 0
		.amdhsa_exception_fp_ieee_invalid_op 0
		.amdhsa_exception_fp_denorm_src 0
		.amdhsa_exception_fp_ieee_div_zero 0
		.amdhsa_exception_fp_ieee_overflow 0
		.amdhsa_exception_fp_ieee_underflow 0
		.amdhsa_exception_fp_ieee_inexact 0
		.amdhsa_exception_int_div_zero 0
	.end_amdhsa_kernel
	.section	.text._ZN7rocprim17ROCPRIM_400000_NS6detail17trampoline_kernelINS0_14default_configENS1_22reduce_config_selectorIN6thrust23THRUST_200600_302600_NS5tupleIbffNS6_9null_typeES8_S8_S8_S8_S8_S8_EEEEZNS1_11reduce_implILb1ES3_NS6_11hip_rocprim26transform_input_iterator_tIS9_NS6_12zip_iteratorINS7_INS6_17counting_iteratorIiNS6_11use_defaultESG_SG_EENS6_6detail15normal_iteratorINS6_10device_ptrIfEEEES8_S8_S8_S8_S8_S8_S8_S8_EEEE15transform_tupleIifEEEPS9_S9_12reduce_tupleIifEEE10hipError_tPvRmT1_T2_T3_mT4_P12ihipStream_tbEUlT_E1_NS1_11comp_targetILNS1_3genE5ELNS1_11target_archE942ELNS1_3gpuE9ELNS1_3repE0EEENS1_30default_config_static_selectorELNS0_4arch9wavefront6targetE0EEEvSY_,"axG",@progbits,_ZN7rocprim17ROCPRIM_400000_NS6detail17trampoline_kernelINS0_14default_configENS1_22reduce_config_selectorIN6thrust23THRUST_200600_302600_NS5tupleIbffNS6_9null_typeES8_S8_S8_S8_S8_S8_EEEEZNS1_11reduce_implILb1ES3_NS6_11hip_rocprim26transform_input_iterator_tIS9_NS6_12zip_iteratorINS7_INS6_17counting_iteratorIiNS6_11use_defaultESG_SG_EENS6_6detail15normal_iteratorINS6_10device_ptrIfEEEES8_S8_S8_S8_S8_S8_S8_S8_EEEE15transform_tupleIifEEEPS9_S9_12reduce_tupleIifEEE10hipError_tPvRmT1_T2_T3_mT4_P12ihipStream_tbEUlT_E1_NS1_11comp_targetILNS1_3genE5ELNS1_11target_archE942ELNS1_3gpuE9ELNS1_3repE0EEENS1_30default_config_static_selectorELNS0_4arch9wavefront6targetE0EEEvSY_,comdat
.Lfunc_end29:
	.size	_ZN7rocprim17ROCPRIM_400000_NS6detail17trampoline_kernelINS0_14default_configENS1_22reduce_config_selectorIN6thrust23THRUST_200600_302600_NS5tupleIbffNS6_9null_typeES8_S8_S8_S8_S8_S8_EEEEZNS1_11reduce_implILb1ES3_NS6_11hip_rocprim26transform_input_iterator_tIS9_NS6_12zip_iteratorINS7_INS6_17counting_iteratorIiNS6_11use_defaultESG_SG_EENS6_6detail15normal_iteratorINS6_10device_ptrIfEEEES8_S8_S8_S8_S8_S8_S8_S8_EEEE15transform_tupleIifEEEPS9_S9_12reduce_tupleIifEEE10hipError_tPvRmT1_T2_T3_mT4_P12ihipStream_tbEUlT_E1_NS1_11comp_targetILNS1_3genE5ELNS1_11target_archE942ELNS1_3gpuE9ELNS1_3repE0EEENS1_30default_config_static_selectorELNS0_4arch9wavefront6targetE0EEEvSY_, .Lfunc_end29-_ZN7rocprim17ROCPRIM_400000_NS6detail17trampoline_kernelINS0_14default_configENS1_22reduce_config_selectorIN6thrust23THRUST_200600_302600_NS5tupleIbffNS6_9null_typeES8_S8_S8_S8_S8_S8_EEEEZNS1_11reduce_implILb1ES3_NS6_11hip_rocprim26transform_input_iterator_tIS9_NS6_12zip_iteratorINS7_INS6_17counting_iteratorIiNS6_11use_defaultESG_SG_EENS6_6detail15normal_iteratorINS6_10device_ptrIfEEEES8_S8_S8_S8_S8_S8_S8_S8_EEEE15transform_tupleIifEEEPS9_S9_12reduce_tupleIifEEE10hipError_tPvRmT1_T2_T3_mT4_P12ihipStream_tbEUlT_E1_NS1_11comp_targetILNS1_3genE5ELNS1_11target_archE942ELNS1_3gpuE9ELNS1_3repE0EEENS1_30default_config_static_selectorELNS0_4arch9wavefront6targetE0EEEvSY_
                                        ; -- End function
	.set _ZN7rocprim17ROCPRIM_400000_NS6detail17trampoline_kernelINS0_14default_configENS1_22reduce_config_selectorIN6thrust23THRUST_200600_302600_NS5tupleIbffNS6_9null_typeES8_S8_S8_S8_S8_S8_EEEEZNS1_11reduce_implILb1ES3_NS6_11hip_rocprim26transform_input_iterator_tIS9_NS6_12zip_iteratorINS7_INS6_17counting_iteratorIiNS6_11use_defaultESG_SG_EENS6_6detail15normal_iteratorINS6_10device_ptrIfEEEES8_S8_S8_S8_S8_S8_S8_S8_EEEE15transform_tupleIifEEEPS9_S9_12reduce_tupleIifEEE10hipError_tPvRmT1_T2_T3_mT4_P12ihipStream_tbEUlT_E1_NS1_11comp_targetILNS1_3genE5ELNS1_11target_archE942ELNS1_3gpuE9ELNS1_3repE0EEENS1_30default_config_static_selectorELNS0_4arch9wavefront6targetE0EEEvSY_.num_vgpr, 0
	.set _ZN7rocprim17ROCPRIM_400000_NS6detail17trampoline_kernelINS0_14default_configENS1_22reduce_config_selectorIN6thrust23THRUST_200600_302600_NS5tupleIbffNS6_9null_typeES8_S8_S8_S8_S8_S8_EEEEZNS1_11reduce_implILb1ES3_NS6_11hip_rocprim26transform_input_iterator_tIS9_NS6_12zip_iteratorINS7_INS6_17counting_iteratorIiNS6_11use_defaultESG_SG_EENS6_6detail15normal_iteratorINS6_10device_ptrIfEEEES8_S8_S8_S8_S8_S8_S8_S8_EEEE15transform_tupleIifEEEPS9_S9_12reduce_tupleIifEEE10hipError_tPvRmT1_T2_T3_mT4_P12ihipStream_tbEUlT_E1_NS1_11comp_targetILNS1_3genE5ELNS1_11target_archE942ELNS1_3gpuE9ELNS1_3repE0EEENS1_30default_config_static_selectorELNS0_4arch9wavefront6targetE0EEEvSY_.num_agpr, 0
	.set _ZN7rocprim17ROCPRIM_400000_NS6detail17trampoline_kernelINS0_14default_configENS1_22reduce_config_selectorIN6thrust23THRUST_200600_302600_NS5tupleIbffNS6_9null_typeES8_S8_S8_S8_S8_S8_EEEEZNS1_11reduce_implILb1ES3_NS6_11hip_rocprim26transform_input_iterator_tIS9_NS6_12zip_iteratorINS7_INS6_17counting_iteratorIiNS6_11use_defaultESG_SG_EENS6_6detail15normal_iteratorINS6_10device_ptrIfEEEES8_S8_S8_S8_S8_S8_S8_S8_EEEE15transform_tupleIifEEEPS9_S9_12reduce_tupleIifEEE10hipError_tPvRmT1_T2_T3_mT4_P12ihipStream_tbEUlT_E1_NS1_11comp_targetILNS1_3genE5ELNS1_11target_archE942ELNS1_3gpuE9ELNS1_3repE0EEENS1_30default_config_static_selectorELNS0_4arch9wavefront6targetE0EEEvSY_.numbered_sgpr, 0
	.set _ZN7rocprim17ROCPRIM_400000_NS6detail17trampoline_kernelINS0_14default_configENS1_22reduce_config_selectorIN6thrust23THRUST_200600_302600_NS5tupleIbffNS6_9null_typeES8_S8_S8_S8_S8_S8_EEEEZNS1_11reduce_implILb1ES3_NS6_11hip_rocprim26transform_input_iterator_tIS9_NS6_12zip_iteratorINS7_INS6_17counting_iteratorIiNS6_11use_defaultESG_SG_EENS6_6detail15normal_iteratorINS6_10device_ptrIfEEEES8_S8_S8_S8_S8_S8_S8_S8_EEEE15transform_tupleIifEEEPS9_S9_12reduce_tupleIifEEE10hipError_tPvRmT1_T2_T3_mT4_P12ihipStream_tbEUlT_E1_NS1_11comp_targetILNS1_3genE5ELNS1_11target_archE942ELNS1_3gpuE9ELNS1_3repE0EEENS1_30default_config_static_selectorELNS0_4arch9wavefront6targetE0EEEvSY_.num_named_barrier, 0
	.set _ZN7rocprim17ROCPRIM_400000_NS6detail17trampoline_kernelINS0_14default_configENS1_22reduce_config_selectorIN6thrust23THRUST_200600_302600_NS5tupleIbffNS6_9null_typeES8_S8_S8_S8_S8_S8_EEEEZNS1_11reduce_implILb1ES3_NS6_11hip_rocprim26transform_input_iterator_tIS9_NS6_12zip_iteratorINS7_INS6_17counting_iteratorIiNS6_11use_defaultESG_SG_EENS6_6detail15normal_iteratorINS6_10device_ptrIfEEEES8_S8_S8_S8_S8_S8_S8_S8_EEEE15transform_tupleIifEEEPS9_S9_12reduce_tupleIifEEE10hipError_tPvRmT1_T2_T3_mT4_P12ihipStream_tbEUlT_E1_NS1_11comp_targetILNS1_3genE5ELNS1_11target_archE942ELNS1_3gpuE9ELNS1_3repE0EEENS1_30default_config_static_selectorELNS0_4arch9wavefront6targetE0EEEvSY_.private_seg_size, 0
	.set _ZN7rocprim17ROCPRIM_400000_NS6detail17trampoline_kernelINS0_14default_configENS1_22reduce_config_selectorIN6thrust23THRUST_200600_302600_NS5tupleIbffNS6_9null_typeES8_S8_S8_S8_S8_S8_EEEEZNS1_11reduce_implILb1ES3_NS6_11hip_rocprim26transform_input_iterator_tIS9_NS6_12zip_iteratorINS7_INS6_17counting_iteratorIiNS6_11use_defaultESG_SG_EENS6_6detail15normal_iteratorINS6_10device_ptrIfEEEES8_S8_S8_S8_S8_S8_S8_S8_EEEE15transform_tupleIifEEEPS9_S9_12reduce_tupleIifEEE10hipError_tPvRmT1_T2_T3_mT4_P12ihipStream_tbEUlT_E1_NS1_11comp_targetILNS1_3genE5ELNS1_11target_archE942ELNS1_3gpuE9ELNS1_3repE0EEENS1_30default_config_static_selectorELNS0_4arch9wavefront6targetE0EEEvSY_.uses_vcc, 0
	.set _ZN7rocprim17ROCPRIM_400000_NS6detail17trampoline_kernelINS0_14default_configENS1_22reduce_config_selectorIN6thrust23THRUST_200600_302600_NS5tupleIbffNS6_9null_typeES8_S8_S8_S8_S8_S8_EEEEZNS1_11reduce_implILb1ES3_NS6_11hip_rocprim26transform_input_iterator_tIS9_NS6_12zip_iteratorINS7_INS6_17counting_iteratorIiNS6_11use_defaultESG_SG_EENS6_6detail15normal_iteratorINS6_10device_ptrIfEEEES8_S8_S8_S8_S8_S8_S8_S8_EEEE15transform_tupleIifEEEPS9_S9_12reduce_tupleIifEEE10hipError_tPvRmT1_T2_T3_mT4_P12ihipStream_tbEUlT_E1_NS1_11comp_targetILNS1_3genE5ELNS1_11target_archE942ELNS1_3gpuE9ELNS1_3repE0EEENS1_30default_config_static_selectorELNS0_4arch9wavefront6targetE0EEEvSY_.uses_flat_scratch, 0
	.set _ZN7rocprim17ROCPRIM_400000_NS6detail17trampoline_kernelINS0_14default_configENS1_22reduce_config_selectorIN6thrust23THRUST_200600_302600_NS5tupleIbffNS6_9null_typeES8_S8_S8_S8_S8_S8_EEEEZNS1_11reduce_implILb1ES3_NS6_11hip_rocprim26transform_input_iterator_tIS9_NS6_12zip_iteratorINS7_INS6_17counting_iteratorIiNS6_11use_defaultESG_SG_EENS6_6detail15normal_iteratorINS6_10device_ptrIfEEEES8_S8_S8_S8_S8_S8_S8_S8_EEEE15transform_tupleIifEEEPS9_S9_12reduce_tupleIifEEE10hipError_tPvRmT1_T2_T3_mT4_P12ihipStream_tbEUlT_E1_NS1_11comp_targetILNS1_3genE5ELNS1_11target_archE942ELNS1_3gpuE9ELNS1_3repE0EEENS1_30default_config_static_selectorELNS0_4arch9wavefront6targetE0EEEvSY_.has_dyn_sized_stack, 0
	.set _ZN7rocprim17ROCPRIM_400000_NS6detail17trampoline_kernelINS0_14default_configENS1_22reduce_config_selectorIN6thrust23THRUST_200600_302600_NS5tupleIbffNS6_9null_typeES8_S8_S8_S8_S8_S8_EEEEZNS1_11reduce_implILb1ES3_NS6_11hip_rocprim26transform_input_iterator_tIS9_NS6_12zip_iteratorINS7_INS6_17counting_iteratorIiNS6_11use_defaultESG_SG_EENS6_6detail15normal_iteratorINS6_10device_ptrIfEEEES8_S8_S8_S8_S8_S8_S8_S8_EEEE15transform_tupleIifEEEPS9_S9_12reduce_tupleIifEEE10hipError_tPvRmT1_T2_T3_mT4_P12ihipStream_tbEUlT_E1_NS1_11comp_targetILNS1_3genE5ELNS1_11target_archE942ELNS1_3gpuE9ELNS1_3repE0EEENS1_30default_config_static_selectorELNS0_4arch9wavefront6targetE0EEEvSY_.has_recursion, 0
	.set _ZN7rocprim17ROCPRIM_400000_NS6detail17trampoline_kernelINS0_14default_configENS1_22reduce_config_selectorIN6thrust23THRUST_200600_302600_NS5tupleIbffNS6_9null_typeES8_S8_S8_S8_S8_S8_EEEEZNS1_11reduce_implILb1ES3_NS6_11hip_rocprim26transform_input_iterator_tIS9_NS6_12zip_iteratorINS7_INS6_17counting_iteratorIiNS6_11use_defaultESG_SG_EENS6_6detail15normal_iteratorINS6_10device_ptrIfEEEES8_S8_S8_S8_S8_S8_S8_S8_EEEE15transform_tupleIifEEEPS9_S9_12reduce_tupleIifEEE10hipError_tPvRmT1_T2_T3_mT4_P12ihipStream_tbEUlT_E1_NS1_11comp_targetILNS1_3genE5ELNS1_11target_archE942ELNS1_3gpuE9ELNS1_3repE0EEENS1_30default_config_static_selectorELNS0_4arch9wavefront6targetE0EEEvSY_.has_indirect_call, 0
	.section	.AMDGPU.csdata,"",@progbits
; Kernel info:
; codeLenInByte = 0
; TotalNumSgprs: 0
; NumVgprs: 0
; ScratchSize: 0
; MemoryBound: 0
; FloatMode: 240
; IeeeMode: 1
; LDSByteSize: 0 bytes/workgroup (compile time only)
; SGPRBlocks: 0
; VGPRBlocks: 0
; NumSGPRsForWavesPerEU: 1
; NumVGPRsForWavesPerEU: 1
; NamedBarCnt: 0
; Occupancy: 16
; WaveLimiterHint : 0
; COMPUTE_PGM_RSRC2:SCRATCH_EN: 0
; COMPUTE_PGM_RSRC2:USER_SGPR: 2
; COMPUTE_PGM_RSRC2:TRAP_HANDLER: 0
; COMPUTE_PGM_RSRC2:TGID_X_EN: 1
; COMPUTE_PGM_RSRC2:TGID_Y_EN: 0
; COMPUTE_PGM_RSRC2:TGID_Z_EN: 0
; COMPUTE_PGM_RSRC2:TIDIG_COMP_CNT: 0
	.section	.text._ZN7rocprim17ROCPRIM_400000_NS6detail17trampoline_kernelINS0_14default_configENS1_22reduce_config_selectorIN6thrust23THRUST_200600_302600_NS5tupleIbffNS6_9null_typeES8_S8_S8_S8_S8_S8_EEEEZNS1_11reduce_implILb1ES3_NS6_11hip_rocprim26transform_input_iterator_tIS9_NS6_12zip_iteratorINS7_INS6_17counting_iteratorIiNS6_11use_defaultESG_SG_EENS6_6detail15normal_iteratorINS6_10device_ptrIfEEEES8_S8_S8_S8_S8_S8_S8_S8_EEEE15transform_tupleIifEEEPS9_S9_12reduce_tupleIifEEE10hipError_tPvRmT1_T2_T3_mT4_P12ihipStream_tbEUlT_E1_NS1_11comp_targetILNS1_3genE4ELNS1_11target_archE910ELNS1_3gpuE8ELNS1_3repE0EEENS1_30default_config_static_selectorELNS0_4arch9wavefront6targetE0EEEvSY_,"axG",@progbits,_ZN7rocprim17ROCPRIM_400000_NS6detail17trampoline_kernelINS0_14default_configENS1_22reduce_config_selectorIN6thrust23THRUST_200600_302600_NS5tupleIbffNS6_9null_typeES8_S8_S8_S8_S8_S8_EEEEZNS1_11reduce_implILb1ES3_NS6_11hip_rocprim26transform_input_iterator_tIS9_NS6_12zip_iteratorINS7_INS6_17counting_iteratorIiNS6_11use_defaultESG_SG_EENS6_6detail15normal_iteratorINS6_10device_ptrIfEEEES8_S8_S8_S8_S8_S8_S8_S8_EEEE15transform_tupleIifEEEPS9_S9_12reduce_tupleIifEEE10hipError_tPvRmT1_T2_T3_mT4_P12ihipStream_tbEUlT_E1_NS1_11comp_targetILNS1_3genE4ELNS1_11target_archE910ELNS1_3gpuE8ELNS1_3repE0EEENS1_30default_config_static_selectorELNS0_4arch9wavefront6targetE0EEEvSY_,comdat
	.protected	_ZN7rocprim17ROCPRIM_400000_NS6detail17trampoline_kernelINS0_14default_configENS1_22reduce_config_selectorIN6thrust23THRUST_200600_302600_NS5tupleIbffNS6_9null_typeES8_S8_S8_S8_S8_S8_EEEEZNS1_11reduce_implILb1ES3_NS6_11hip_rocprim26transform_input_iterator_tIS9_NS6_12zip_iteratorINS7_INS6_17counting_iteratorIiNS6_11use_defaultESG_SG_EENS6_6detail15normal_iteratorINS6_10device_ptrIfEEEES8_S8_S8_S8_S8_S8_S8_S8_EEEE15transform_tupleIifEEEPS9_S9_12reduce_tupleIifEEE10hipError_tPvRmT1_T2_T3_mT4_P12ihipStream_tbEUlT_E1_NS1_11comp_targetILNS1_3genE4ELNS1_11target_archE910ELNS1_3gpuE8ELNS1_3repE0EEENS1_30default_config_static_selectorELNS0_4arch9wavefront6targetE0EEEvSY_ ; -- Begin function _ZN7rocprim17ROCPRIM_400000_NS6detail17trampoline_kernelINS0_14default_configENS1_22reduce_config_selectorIN6thrust23THRUST_200600_302600_NS5tupleIbffNS6_9null_typeES8_S8_S8_S8_S8_S8_EEEEZNS1_11reduce_implILb1ES3_NS6_11hip_rocprim26transform_input_iterator_tIS9_NS6_12zip_iteratorINS7_INS6_17counting_iteratorIiNS6_11use_defaultESG_SG_EENS6_6detail15normal_iteratorINS6_10device_ptrIfEEEES8_S8_S8_S8_S8_S8_S8_S8_EEEE15transform_tupleIifEEEPS9_S9_12reduce_tupleIifEEE10hipError_tPvRmT1_T2_T3_mT4_P12ihipStream_tbEUlT_E1_NS1_11comp_targetILNS1_3genE4ELNS1_11target_archE910ELNS1_3gpuE8ELNS1_3repE0EEENS1_30default_config_static_selectorELNS0_4arch9wavefront6targetE0EEEvSY_
	.globl	_ZN7rocprim17ROCPRIM_400000_NS6detail17trampoline_kernelINS0_14default_configENS1_22reduce_config_selectorIN6thrust23THRUST_200600_302600_NS5tupleIbffNS6_9null_typeES8_S8_S8_S8_S8_S8_EEEEZNS1_11reduce_implILb1ES3_NS6_11hip_rocprim26transform_input_iterator_tIS9_NS6_12zip_iteratorINS7_INS6_17counting_iteratorIiNS6_11use_defaultESG_SG_EENS6_6detail15normal_iteratorINS6_10device_ptrIfEEEES8_S8_S8_S8_S8_S8_S8_S8_EEEE15transform_tupleIifEEEPS9_S9_12reduce_tupleIifEEE10hipError_tPvRmT1_T2_T3_mT4_P12ihipStream_tbEUlT_E1_NS1_11comp_targetILNS1_3genE4ELNS1_11target_archE910ELNS1_3gpuE8ELNS1_3repE0EEENS1_30default_config_static_selectorELNS0_4arch9wavefront6targetE0EEEvSY_
	.p2align	8
	.type	_ZN7rocprim17ROCPRIM_400000_NS6detail17trampoline_kernelINS0_14default_configENS1_22reduce_config_selectorIN6thrust23THRUST_200600_302600_NS5tupleIbffNS6_9null_typeES8_S8_S8_S8_S8_S8_EEEEZNS1_11reduce_implILb1ES3_NS6_11hip_rocprim26transform_input_iterator_tIS9_NS6_12zip_iteratorINS7_INS6_17counting_iteratorIiNS6_11use_defaultESG_SG_EENS6_6detail15normal_iteratorINS6_10device_ptrIfEEEES8_S8_S8_S8_S8_S8_S8_S8_EEEE15transform_tupleIifEEEPS9_S9_12reduce_tupleIifEEE10hipError_tPvRmT1_T2_T3_mT4_P12ihipStream_tbEUlT_E1_NS1_11comp_targetILNS1_3genE4ELNS1_11target_archE910ELNS1_3gpuE8ELNS1_3repE0EEENS1_30default_config_static_selectorELNS0_4arch9wavefront6targetE0EEEvSY_,@function
_ZN7rocprim17ROCPRIM_400000_NS6detail17trampoline_kernelINS0_14default_configENS1_22reduce_config_selectorIN6thrust23THRUST_200600_302600_NS5tupleIbffNS6_9null_typeES8_S8_S8_S8_S8_S8_EEEEZNS1_11reduce_implILb1ES3_NS6_11hip_rocprim26transform_input_iterator_tIS9_NS6_12zip_iteratorINS7_INS6_17counting_iteratorIiNS6_11use_defaultESG_SG_EENS6_6detail15normal_iteratorINS6_10device_ptrIfEEEES8_S8_S8_S8_S8_S8_S8_S8_EEEE15transform_tupleIifEEEPS9_S9_12reduce_tupleIifEEE10hipError_tPvRmT1_T2_T3_mT4_P12ihipStream_tbEUlT_E1_NS1_11comp_targetILNS1_3genE4ELNS1_11target_archE910ELNS1_3gpuE8ELNS1_3repE0EEENS1_30default_config_static_selectorELNS0_4arch9wavefront6targetE0EEEvSY_: ; @_ZN7rocprim17ROCPRIM_400000_NS6detail17trampoline_kernelINS0_14default_configENS1_22reduce_config_selectorIN6thrust23THRUST_200600_302600_NS5tupleIbffNS6_9null_typeES8_S8_S8_S8_S8_S8_EEEEZNS1_11reduce_implILb1ES3_NS6_11hip_rocprim26transform_input_iterator_tIS9_NS6_12zip_iteratorINS7_INS6_17counting_iteratorIiNS6_11use_defaultESG_SG_EENS6_6detail15normal_iteratorINS6_10device_ptrIfEEEES8_S8_S8_S8_S8_S8_S8_S8_EEEE15transform_tupleIifEEEPS9_S9_12reduce_tupleIifEEE10hipError_tPvRmT1_T2_T3_mT4_P12ihipStream_tbEUlT_E1_NS1_11comp_targetILNS1_3genE4ELNS1_11target_archE910ELNS1_3gpuE8ELNS1_3repE0EEENS1_30default_config_static_selectorELNS0_4arch9wavefront6targetE0EEEvSY_
; %bb.0:
	.section	.rodata,"a",@progbits
	.p2align	6, 0x0
	.amdhsa_kernel _ZN7rocprim17ROCPRIM_400000_NS6detail17trampoline_kernelINS0_14default_configENS1_22reduce_config_selectorIN6thrust23THRUST_200600_302600_NS5tupleIbffNS6_9null_typeES8_S8_S8_S8_S8_S8_EEEEZNS1_11reduce_implILb1ES3_NS6_11hip_rocprim26transform_input_iterator_tIS9_NS6_12zip_iteratorINS7_INS6_17counting_iteratorIiNS6_11use_defaultESG_SG_EENS6_6detail15normal_iteratorINS6_10device_ptrIfEEEES8_S8_S8_S8_S8_S8_S8_S8_EEEE15transform_tupleIifEEEPS9_S9_12reduce_tupleIifEEE10hipError_tPvRmT1_T2_T3_mT4_P12ihipStream_tbEUlT_E1_NS1_11comp_targetILNS1_3genE4ELNS1_11target_archE910ELNS1_3gpuE8ELNS1_3repE0EEENS1_30default_config_static_selectorELNS0_4arch9wavefront6targetE0EEEvSY_
		.amdhsa_group_segment_fixed_size 0
		.amdhsa_private_segment_fixed_size 0
		.amdhsa_kernarg_size 64
		.amdhsa_user_sgpr_count 2
		.amdhsa_user_sgpr_dispatch_ptr 0
		.amdhsa_user_sgpr_queue_ptr 0
		.amdhsa_user_sgpr_kernarg_segment_ptr 1
		.amdhsa_user_sgpr_dispatch_id 0
		.amdhsa_user_sgpr_kernarg_preload_length 0
		.amdhsa_user_sgpr_kernarg_preload_offset 0
		.amdhsa_user_sgpr_private_segment_size 0
		.amdhsa_wavefront_size32 1
		.amdhsa_uses_dynamic_stack 0
		.amdhsa_enable_private_segment 0
		.amdhsa_system_sgpr_workgroup_id_x 1
		.amdhsa_system_sgpr_workgroup_id_y 0
		.amdhsa_system_sgpr_workgroup_id_z 0
		.amdhsa_system_sgpr_workgroup_info 0
		.amdhsa_system_vgpr_workitem_id 0
		.amdhsa_next_free_vgpr 1
		.amdhsa_next_free_sgpr 1
		.amdhsa_named_barrier_count 0
		.amdhsa_reserve_vcc 0
		.amdhsa_float_round_mode_32 0
		.amdhsa_float_round_mode_16_64 0
		.amdhsa_float_denorm_mode_32 3
		.amdhsa_float_denorm_mode_16_64 3
		.amdhsa_fp16_overflow 0
		.amdhsa_memory_ordered 1
		.amdhsa_forward_progress 1
		.amdhsa_inst_pref_size 0
		.amdhsa_round_robin_scheduling 0
		.amdhsa_exception_fp_ieee_invalid_op 0
		.amdhsa_exception_fp_denorm_src 0
		.amdhsa_exception_fp_ieee_div_zero 0
		.amdhsa_exception_fp_ieee_overflow 0
		.amdhsa_exception_fp_ieee_underflow 0
		.amdhsa_exception_fp_ieee_inexact 0
		.amdhsa_exception_int_div_zero 0
	.end_amdhsa_kernel
	.section	.text._ZN7rocprim17ROCPRIM_400000_NS6detail17trampoline_kernelINS0_14default_configENS1_22reduce_config_selectorIN6thrust23THRUST_200600_302600_NS5tupleIbffNS6_9null_typeES8_S8_S8_S8_S8_S8_EEEEZNS1_11reduce_implILb1ES3_NS6_11hip_rocprim26transform_input_iterator_tIS9_NS6_12zip_iteratorINS7_INS6_17counting_iteratorIiNS6_11use_defaultESG_SG_EENS6_6detail15normal_iteratorINS6_10device_ptrIfEEEES8_S8_S8_S8_S8_S8_S8_S8_EEEE15transform_tupleIifEEEPS9_S9_12reduce_tupleIifEEE10hipError_tPvRmT1_T2_T3_mT4_P12ihipStream_tbEUlT_E1_NS1_11comp_targetILNS1_3genE4ELNS1_11target_archE910ELNS1_3gpuE8ELNS1_3repE0EEENS1_30default_config_static_selectorELNS0_4arch9wavefront6targetE0EEEvSY_,"axG",@progbits,_ZN7rocprim17ROCPRIM_400000_NS6detail17trampoline_kernelINS0_14default_configENS1_22reduce_config_selectorIN6thrust23THRUST_200600_302600_NS5tupleIbffNS6_9null_typeES8_S8_S8_S8_S8_S8_EEEEZNS1_11reduce_implILb1ES3_NS6_11hip_rocprim26transform_input_iterator_tIS9_NS6_12zip_iteratorINS7_INS6_17counting_iteratorIiNS6_11use_defaultESG_SG_EENS6_6detail15normal_iteratorINS6_10device_ptrIfEEEES8_S8_S8_S8_S8_S8_S8_S8_EEEE15transform_tupleIifEEEPS9_S9_12reduce_tupleIifEEE10hipError_tPvRmT1_T2_T3_mT4_P12ihipStream_tbEUlT_E1_NS1_11comp_targetILNS1_3genE4ELNS1_11target_archE910ELNS1_3gpuE8ELNS1_3repE0EEENS1_30default_config_static_selectorELNS0_4arch9wavefront6targetE0EEEvSY_,comdat
.Lfunc_end30:
	.size	_ZN7rocprim17ROCPRIM_400000_NS6detail17trampoline_kernelINS0_14default_configENS1_22reduce_config_selectorIN6thrust23THRUST_200600_302600_NS5tupleIbffNS6_9null_typeES8_S8_S8_S8_S8_S8_EEEEZNS1_11reduce_implILb1ES3_NS6_11hip_rocprim26transform_input_iterator_tIS9_NS6_12zip_iteratorINS7_INS6_17counting_iteratorIiNS6_11use_defaultESG_SG_EENS6_6detail15normal_iteratorINS6_10device_ptrIfEEEES8_S8_S8_S8_S8_S8_S8_S8_EEEE15transform_tupleIifEEEPS9_S9_12reduce_tupleIifEEE10hipError_tPvRmT1_T2_T3_mT4_P12ihipStream_tbEUlT_E1_NS1_11comp_targetILNS1_3genE4ELNS1_11target_archE910ELNS1_3gpuE8ELNS1_3repE0EEENS1_30default_config_static_selectorELNS0_4arch9wavefront6targetE0EEEvSY_, .Lfunc_end30-_ZN7rocprim17ROCPRIM_400000_NS6detail17trampoline_kernelINS0_14default_configENS1_22reduce_config_selectorIN6thrust23THRUST_200600_302600_NS5tupleIbffNS6_9null_typeES8_S8_S8_S8_S8_S8_EEEEZNS1_11reduce_implILb1ES3_NS6_11hip_rocprim26transform_input_iterator_tIS9_NS6_12zip_iteratorINS7_INS6_17counting_iteratorIiNS6_11use_defaultESG_SG_EENS6_6detail15normal_iteratorINS6_10device_ptrIfEEEES8_S8_S8_S8_S8_S8_S8_S8_EEEE15transform_tupleIifEEEPS9_S9_12reduce_tupleIifEEE10hipError_tPvRmT1_T2_T3_mT4_P12ihipStream_tbEUlT_E1_NS1_11comp_targetILNS1_3genE4ELNS1_11target_archE910ELNS1_3gpuE8ELNS1_3repE0EEENS1_30default_config_static_selectorELNS0_4arch9wavefront6targetE0EEEvSY_
                                        ; -- End function
	.set _ZN7rocprim17ROCPRIM_400000_NS6detail17trampoline_kernelINS0_14default_configENS1_22reduce_config_selectorIN6thrust23THRUST_200600_302600_NS5tupleIbffNS6_9null_typeES8_S8_S8_S8_S8_S8_EEEEZNS1_11reduce_implILb1ES3_NS6_11hip_rocprim26transform_input_iterator_tIS9_NS6_12zip_iteratorINS7_INS6_17counting_iteratorIiNS6_11use_defaultESG_SG_EENS6_6detail15normal_iteratorINS6_10device_ptrIfEEEES8_S8_S8_S8_S8_S8_S8_S8_EEEE15transform_tupleIifEEEPS9_S9_12reduce_tupleIifEEE10hipError_tPvRmT1_T2_T3_mT4_P12ihipStream_tbEUlT_E1_NS1_11comp_targetILNS1_3genE4ELNS1_11target_archE910ELNS1_3gpuE8ELNS1_3repE0EEENS1_30default_config_static_selectorELNS0_4arch9wavefront6targetE0EEEvSY_.num_vgpr, 0
	.set _ZN7rocprim17ROCPRIM_400000_NS6detail17trampoline_kernelINS0_14default_configENS1_22reduce_config_selectorIN6thrust23THRUST_200600_302600_NS5tupleIbffNS6_9null_typeES8_S8_S8_S8_S8_S8_EEEEZNS1_11reduce_implILb1ES3_NS6_11hip_rocprim26transform_input_iterator_tIS9_NS6_12zip_iteratorINS7_INS6_17counting_iteratorIiNS6_11use_defaultESG_SG_EENS6_6detail15normal_iteratorINS6_10device_ptrIfEEEES8_S8_S8_S8_S8_S8_S8_S8_EEEE15transform_tupleIifEEEPS9_S9_12reduce_tupleIifEEE10hipError_tPvRmT1_T2_T3_mT4_P12ihipStream_tbEUlT_E1_NS1_11comp_targetILNS1_3genE4ELNS1_11target_archE910ELNS1_3gpuE8ELNS1_3repE0EEENS1_30default_config_static_selectorELNS0_4arch9wavefront6targetE0EEEvSY_.num_agpr, 0
	.set _ZN7rocprim17ROCPRIM_400000_NS6detail17trampoline_kernelINS0_14default_configENS1_22reduce_config_selectorIN6thrust23THRUST_200600_302600_NS5tupleIbffNS6_9null_typeES8_S8_S8_S8_S8_S8_EEEEZNS1_11reduce_implILb1ES3_NS6_11hip_rocprim26transform_input_iterator_tIS9_NS6_12zip_iteratorINS7_INS6_17counting_iteratorIiNS6_11use_defaultESG_SG_EENS6_6detail15normal_iteratorINS6_10device_ptrIfEEEES8_S8_S8_S8_S8_S8_S8_S8_EEEE15transform_tupleIifEEEPS9_S9_12reduce_tupleIifEEE10hipError_tPvRmT1_T2_T3_mT4_P12ihipStream_tbEUlT_E1_NS1_11comp_targetILNS1_3genE4ELNS1_11target_archE910ELNS1_3gpuE8ELNS1_3repE0EEENS1_30default_config_static_selectorELNS0_4arch9wavefront6targetE0EEEvSY_.numbered_sgpr, 0
	.set _ZN7rocprim17ROCPRIM_400000_NS6detail17trampoline_kernelINS0_14default_configENS1_22reduce_config_selectorIN6thrust23THRUST_200600_302600_NS5tupleIbffNS6_9null_typeES8_S8_S8_S8_S8_S8_EEEEZNS1_11reduce_implILb1ES3_NS6_11hip_rocprim26transform_input_iterator_tIS9_NS6_12zip_iteratorINS7_INS6_17counting_iteratorIiNS6_11use_defaultESG_SG_EENS6_6detail15normal_iteratorINS6_10device_ptrIfEEEES8_S8_S8_S8_S8_S8_S8_S8_EEEE15transform_tupleIifEEEPS9_S9_12reduce_tupleIifEEE10hipError_tPvRmT1_T2_T3_mT4_P12ihipStream_tbEUlT_E1_NS1_11comp_targetILNS1_3genE4ELNS1_11target_archE910ELNS1_3gpuE8ELNS1_3repE0EEENS1_30default_config_static_selectorELNS0_4arch9wavefront6targetE0EEEvSY_.num_named_barrier, 0
	.set _ZN7rocprim17ROCPRIM_400000_NS6detail17trampoline_kernelINS0_14default_configENS1_22reduce_config_selectorIN6thrust23THRUST_200600_302600_NS5tupleIbffNS6_9null_typeES8_S8_S8_S8_S8_S8_EEEEZNS1_11reduce_implILb1ES3_NS6_11hip_rocprim26transform_input_iterator_tIS9_NS6_12zip_iteratorINS7_INS6_17counting_iteratorIiNS6_11use_defaultESG_SG_EENS6_6detail15normal_iteratorINS6_10device_ptrIfEEEES8_S8_S8_S8_S8_S8_S8_S8_EEEE15transform_tupleIifEEEPS9_S9_12reduce_tupleIifEEE10hipError_tPvRmT1_T2_T3_mT4_P12ihipStream_tbEUlT_E1_NS1_11comp_targetILNS1_3genE4ELNS1_11target_archE910ELNS1_3gpuE8ELNS1_3repE0EEENS1_30default_config_static_selectorELNS0_4arch9wavefront6targetE0EEEvSY_.private_seg_size, 0
	.set _ZN7rocprim17ROCPRIM_400000_NS6detail17trampoline_kernelINS0_14default_configENS1_22reduce_config_selectorIN6thrust23THRUST_200600_302600_NS5tupleIbffNS6_9null_typeES8_S8_S8_S8_S8_S8_EEEEZNS1_11reduce_implILb1ES3_NS6_11hip_rocprim26transform_input_iterator_tIS9_NS6_12zip_iteratorINS7_INS6_17counting_iteratorIiNS6_11use_defaultESG_SG_EENS6_6detail15normal_iteratorINS6_10device_ptrIfEEEES8_S8_S8_S8_S8_S8_S8_S8_EEEE15transform_tupleIifEEEPS9_S9_12reduce_tupleIifEEE10hipError_tPvRmT1_T2_T3_mT4_P12ihipStream_tbEUlT_E1_NS1_11comp_targetILNS1_3genE4ELNS1_11target_archE910ELNS1_3gpuE8ELNS1_3repE0EEENS1_30default_config_static_selectorELNS0_4arch9wavefront6targetE0EEEvSY_.uses_vcc, 0
	.set _ZN7rocprim17ROCPRIM_400000_NS6detail17trampoline_kernelINS0_14default_configENS1_22reduce_config_selectorIN6thrust23THRUST_200600_302600_NS5tupleIbffNS6_9null_typeES8_S8_S8_S8_S8_S8_EEEEZNS1_11reduce_implILb1ES3_NS6_11hip_rocprim26transform_input_iterator_tIS9_NS6_12zip_iteratorINS7_INS6_17counting_iteratorIiNS6_11use_defaultESG_SG_EENS6_6detail15normal_iteratorINS6_10device_ptrIfEEEES8_S8_S8_S8_S8_S8_S8_S8_EEEE15transform_tupleIifEEEPS9_S9_12reduce_tupleIifEEE10hipError_tPvRmT1_T2_T3_mT4_P12ihipStream_tbEUlT_E1_NS1_11comp_targetILNS1_3genE4ELNS1_11target_archE910ELNS1_3gpuE8ELNS1_3repE0EEENS1_30default_config_static_selectorELNS0_4arch9wavefront6targetE0EEEvSY_.uses_flat_scratch, 0
	.set _ZN7rocprim17ROCPRIM_400000_NS6detail17trampoline_kernelINS0_14default_configENS1_22reduce_config_selectorIN6thrust23THRUST_200600_302600_NS5tupleIbffNS6_9null_typeES8_S8_S8_S8_S8_S8_EEEEZNS1_11reduce_implILb1ES3_NS6_11hip_rocprim26transform_input_iterator_tIS9_NS6_12zip_iteratorINS7_INS6_17counting_iteratorIiNS6_11use_defaultESG_SG_EENS6_6detail15normal_iteratorINS6_10device_ptrIfEEEES8_S8_S8_S8_S8_S8_S8_S8_EEEE15transform_tupleIifEEEPS9_S9_12reduce_tupleIifEEE10hipError_tPvRmT1_T2_T3_mT4_P12ihipStream_tbEUlT_E1_NS1_11comp_targetILNS1_3genE4ELNS1_11target_archE910ELNS1_3gpuE8ELNS1_3repE0EEENS1_30default_config_static_selectorELNS0_4arch9wavefront6targetE0EEEvSY_.has_dyn_sized_stack, 0
	.set _ZN7rocprim17ROCPRIM_400000_NS6detail17trampoline_kernelINS0_14default_configENS1_22reduce_config_selectorIN6thrust23THRUST_200600_302600_NS5tupleIbffNS6_9null_typeES8_S8_S8_S8_S8_S8_EEEEZNS1_11reduce_implILb1ES3_NS6_11hip_rocprim26transform_input_iterator_tIS9_NS6_12zip_iteratorINS7_INS6_17counting_iteratorIiNS6_11use_defaultESG_SG_EENS6_6detail15normal_iteratorINS6_10device_ptrIfEEEES8_S8_S8_S8_S8_S8_S8_S8_EEEE15transform_tupleIifEEEPS9_S9_12reduce_tupleIifEEE10hipError_tPvRmT1_T2_T3_mT4_P12ihipStream_tbEUlT_E1_NS1_11comp_targetILNS1_3genE4ELNS1_11target_archE910ELNS1_3gpuE8ELNS1_3repE0EEENS1_30default_config_static_selectorELNS0_4arch9wavefront6targetE0EEEvSY_.has_recursion, 0
	.set _ZN7rocprim17ROCPRIM_400000_NS6detail17trampoline_kernelINS0_14default_configENS1_22reduce_config_selectorIN6thrust23THRUST_200600_302600_NS5tupleIbffNS6_9null_typeES8_S8_S8_S8_S8_S8_EEEEZNS1_11reduce_implILb1ES3_NS6_11hip_rocprim26transform_input_iterator_tIS9_NS6_12zip_iteratorINS7_INS6_17counting_iteratorIiNS6_11use_defaultESG_SG_EENS6_6detail15normal_iteratorINS6_10device_ptrIfEEEES8_S8_S8_S8_S8_S8_S8_S8_EEEE15transform_tupleIifEEEPS9_S9_12reduce_tupleIifEEE10hipError_tPvRmT1_T2_T3_mT4_P12ihipStream_tbEUlT_E1_NS1_11comp_targetILNS1_3genE4ELNS1_11target_archE910ELNS1_3gpuE8ELNS1_3repE0EEENS1_30default_config_static_selectorELNS0_4arch9wavefront6targetE0EEEvSY_.has_indirect_call, 0
	.section	.AMDGPU.csdata,"",@progbits
; Kernel info:
; codeLenInByte = 0
; TotalNumSgprs: 0
; NumVgprs: 0
; ScratchSize: 0
; MemoryBound: 0
; FloatMode: 240
; IeeeMode: 1
; LDSByteSize: 0 bytes/workgroup (compile time only)
; SGPRBlocks: 0
; VGPRBlocks: 0
; NumSGPRsForWavesPerEU: 1
; NumVGPRsForWavesPerEU: 1
; NamedBarCnt: 0
; Occupancy: 16
; WaveLimiterHint : 0
; COMPUTE_PGM_RSRC2:SCRATCH_EN: 0
; COMPUTE_PGM_RSRC2:USER_SGPR: 2
; COMPUTE_PGM_RSRC2:TRAP_HANDLER: 0
; COMPUTE_PGM_RSRC2:TGID_X_EN: 1
; COMPUTE_PGM_RSRC2:TGID_Y_EN: 0
; COMPUTE_PGM_RSRC2:TGID_Z_EN: 0
; COMPUTE_PGM_RSRC2:TIDIG_COMP_CNT: 0
	.section	.text._ZN7rocprim17ROCPRIM_400000_NS6detail17trampoline_kernelINS0_14default_configENS1_22reduce_config_selectorIN6thrust23THRUST_200600_302600_NS5tupleIbffNS6_9null_typeES8_S8_S8_S8_S8_S8_EEEEZNS1_11reduce_implILb1ES3_NS6_11hip_rocprim26transform_input_iterator_tIS9_NS6_12zip_iteratorINS7_INS6_17counting_iteratorIiNS6_11use_defaultESG_SG_EENS6_6detail15normal_iteratorINS6_10device_ptrIfEEEES8_S8_S8_S8_S8_S8_S8_S8_EEEE15transform_tupleIifEEEPS9_S9_12reduce_tupleIifEEE10hipError_tPvRmT1_T2_T3_mT4_P12ihipStream_tbEUlT_E1_NS1_11comp_targetILNS1_3genE3ELNS1_11target_archE908ELNS1_3gpuE7ELNS1_3repE0EEENS1_30default_config_static_selectorELNS0_4arch9wavefront6targetE0EEEvSY_,"axG",@progbits,_ZN7rocprim17ROCPRIM_400000_NS6detail17trampoline_kernelINS0_14default_configENS1_22reduce_config_selectorIN6thrust23THRUST_200600_302600_NS5tupleIbffNS6_9null_typeES8_S8_S8_S8_S8_S8_EEEEZNS1_11reduce_implILb1ES3_NS6_11hip_rocprim26transform_input_iterator_tIS9_NS6_12zip_iteratorINS7_INS6_17counting_iteratorIiNS6_11use_defaultESG_SG_EENS6_6detail15normal_iteratorINS6_10device_ptrIfEEEES8_S8_S8_S8_S8_S8_S8_S8_EEEE15transform_tupleIifEEEPS9_S9_12reduce_tupleIifEEE10hipError_tPvRmT1_T2_T3_mT4_P12ihipStream_tbEUlT_E1_NS1_11comp_targetILNS1_3genE3ELNS1_11target_archE908ELNS1_3gpuE7ELNS1_3repE0EEENS1_30default_config_static_selectorELNS0_4arch9wavefront6targetE0EEEvSY_,comdat
	.protected	_ZN7rocprim17ROCPRIM_400000_NS6detail17trampoline_kernelINS0_14default_configENS1_22reduce_config_selectorIN6thrust23THRUST_200600_302600_NS5tupleIbffNS6_9null_typeES8_S8_S8_S8_S8_S8_EEEEZNS1_11reduce_implILb1ES3_NS6_11hip_rocprim26transform_input_iterator_tIS9_NS6_12zip_iteratorINS7_INS6_17counting_iteratorIiNS6_11use_defaultESG_SG_EENS6_6detail15normal_iteratorINS6_10device_ptrIfEEEES8_S8_S8_S8_S8_S8_S8_S8_EEEE15transform_tupleIifEEEPS9_S9_12reduce_tupleIifEEE10hipError_tPvRmT1_T2_T3_mT4_P12ihipStream_tbEUlT_E1_NS1_11comp_targetILNS1_3genE3ELNS1_11target_archE908ELNS1_3gpuE7ELNS1_3repE0EEENS1_30default_config_static_selectorELNS0_4arch9wavefront6targetE0EEEvSY_ ; -- Begin function _ZN7rocprim17ROCPRIM_400000_NS6detail17trampoline_kernelINS0_14default_configENS1_22reduce_config_selectorIN6thrust23THRUST_200600_302600_NS5tupleIbffNS6_9null_typeES8_S8_S8_S8_S8_S8_EEEEZNS1_11reduce_implILb1ES3_NS6_11hip_rocprim26transform_input_iterator_tIS9_NS6_12zip_iteratorINS7_INS6_17counting_iteratorIiNS6_11use_defaultESG_SG_EENS6_6detail15normal_iteratorINS6_10device_ptrIfEEEES8_S8_S8_S8_S8_S8_S8_S8_EEEE15transform_tupleIifEEEPS9_S9_12reduce_tupleIifEEE10hipError_tPvRmT1_T2_T3_mT4_P12ihipStream_tbEUlT_E1_NS1_11comp_targetILNS1_3genE3ELNS1_11target_archE908ELNS1_3gpuE7ELNS1_3repE0EEENS1_30default_config_static_selectorELNS0_4arch9wavefront6targetE0EEEvSY_
	.globl	_ZN7rocprim17ROCPRIM_400000_NS6detail17trampoline_kernelINS0_14default_configENS1_22reduce_config_selectorIN6thrust23THRUST_200600_302600_NS5tupleIbffNS6_9null_typeES8_S8_S8_S8_S8_S8_EEEEZNS1_11reduce_implILb1ES3_NS6_11hip_rocprim26transform_input_iterator_tIS9_NS6_12zip_iteratorINS7_INS6_17counting_iteratorIiNS6_11use_defaultESG_SG_EENS6_6detail15normal_iteratorINS6_10device_ptrIfEEEES8_S8_S8_S8_S8_S8_S8_S8_EEEE15transform_tupleIifEEEPS9_S9_12reduce_tupleIifEEE10hipError_tPvRmT1_T2_T3_mT4_P12ihipStream_tbEUlT_E1_NS1_11comp_targetILNS1_3genE3ELNS1_11target_archE908ELNS1_3gpuE7ELNS1_3repE0EEENS1_30default_config_static_selectorELNS0_4arch9wavefront6targetE0EEEvSY_
	.p2align	8
	.type	_ZN7rocprim17ROCPRIM_400000_NS6detail17trampoline_kernelINS0_14default_configENS1_22reduce_config_selectorIN6thrust23THRUST_200600_302600_NS5tupleIbffNS6_9null_typeES8_S8_S8_S8_S8_S8_EEEEZNS1_11reduce_implILb1ES3_NS6_11hip_rocprim26transform_input_iterator_tIS9_NS6_12zip_iteratorINS7_INS6_17counting_iteratorIiNS6_11use_defaultESG_SG_EENS6_6detail15normal_iteratorINS6_10device_ptrIfEEEES8_S8_S8_S8_S8_S8_S8_S8_EEEE15transform_tupleIifEEEPS9_S9_12reduce_tupleIifEEE10hipError_tPvRmT1_T2_T3_mT4_P12ihipStream_tbEUlT_E1_NS1_11comp_targetILNS1_3genE3ELNS1_11target_archE908ELNS1_3gpuE7ELNS1_3repE0EEENS1_30default_config_static_selectorELNS0_4arch9wavefront6targetE0EEEvSY_,@function
_ZN7rocprim17ROCPRIM_400000_NS6detail17trampoline_kernelINS0_14default_configENS1_22reduce_config_selectorIN6thrust23THRUST_200600_302600_NS5tupleIbffNS6_9null_typeES8_S8_S8_S8_S8_S8_EEEEZNS1_11reduce_implILb1ES3_NS6_11hip_rocprim26transform_input_iterator_tIS9_NS6_12zip_iteratorINS7_INS6_17counting_iteratorIiNS6_11use_defaultESG_SG_EENS6_6detail15normal_iteratorINS6_10device_ptrIfEEEES8_S8_S8_S8_S8_S8_S8_S8_EEEE15transform_tupleIifEEEPS9_S9_12reduce_tupleIifEEE10hipError_tPvRmT1_T2_T3_mT4_P12ihipStream_tbEUlT_E1_NS1_11comp_targetILNS1_3genE3ELNS1_11target_archE908ELNS1_3gpuE7ELNS1_3repE0EEENS1_30default_config_static_selectorELNS0_4arch9wavefront6targetE0EEEvSY_: ; @_ZN7rocprim17ROCPRIM_400000_NS6detail17trampoline_kernelINS0_14default_configENS1_22reduce_config_selectorIN6thrust23THRUST_200600_302600_NS5tupleIbffNS6_9null_typeES8_S8_S8_S8_S8_S8_EEEEZNS1_11reduce_implILb1ES3_NS6_11hip_rocprim26transform_input_iterator_tIS9_NS6_12zip_iteratorINS7_INS6_17counting_iteratorIiNS6_11use_defaultESG_SG_EENS6_6detail15normal_iteratorINS6_10device_ptrIfEEEES8_S8_S8_S8_S8_S8_S8_S8_EEEE15transform_tupleIifEEEPS9_S9_12reduce_tupleIifEEE10hipError_tPvRmT1_T2_T3_mT4_P12ihipStream_tbEUlT_E1_NS1_11comp_targetILNS1_3genE3ELNS1_11target_archE908ELNS1_3gpuE7ELNS1_3repE0EEENS1_30default_config_static_selectorELNS0_4arch9wavefront6targetE0EEEvSY_
; %bb.0:
	.section	.rodata,"a",@progbits
	.p2align	6, 0x0
	.amdhsa_kernel _ZN7rocprim17ROCPRIM_400000_NS6detail17trampoline_kernelINS0_14default_configENS1_22reduce_config_selectorIN6thrust23THRUST_200600_302600_NS5tupleIbffNS6_9null_typeES8_S8_S8_S8_S8_S8_EEEEZNS1_11reduce_implILb1ES3_NS6_11hip_rocprim26transform_input_iterator_tIS9_NS6_12zip_iteratorINS7_INS6_17counting_iteratorIiNS6_11use_defaultESG_SG_EENS6_6detail15normal_iteratorINS6_10device_ptrIfEEEES8_S8_S8_S8_S8_S8_S8_S8_EEEE15transform_tupleIifEEEPS9_S9_12reduce_tupleIifEEE10hipError_tPvRmT1_T2_T3_mT4_P12ihipStream_tbEUlT_E1_NS1_11comp_targetILNS1_3genE3ELNS1_11target_archE908ELNS1_3gpuE7ELNS1_3repE0EEENS1_30default_config_static_selectorELNS0_4arch9wavefront6targetE0EEEvSY_
		.amdhsa_group_segment_fixed_size 0
		.amdhsa_private_segment_fixed_size 0
		.amdhsa_kernarg_size 64
		.amdhsa_user_sgpr_count 2
		.amdhsa_user_sgpr_dispatch_ptr 0
		.amdhsa_user_sgpr_queue_ptr 0
		.amdhsa_user_sgpr_kernarg_segment_ptr 1
		.amdhsa_user_sgpr_dispatch_id 0
		.amdhsa_user_sgpr_kernarg_preload_length 0
		.amdhsa_user_sgpr_kernarg_preload_offset 0
		.amdhsa_user_sgpr_private_segment_size 0
		.amdhsa_wavefront_size32 1
		.amdhsa_uses_dynamic_stack 0
		.amdhsa_enable_private_segment 0
		.amdhsa_system_sgpr_workgroup_id_x 1
		.amdhsa_system_sgpr_workgroup_id_y 0
		.amdhsa_system_sgpr_workgroup_id_z 0
		.amdhsa_system_sgpr_workgroup_info 0
		.amdhsa_system_vgpr_workitem_id 0
		.amdhsa_next_free_vgpr 1
		.amdhsa_next_free_sgpr 1
		.amdhsa_named_barrier_count 0
		.amdhsa_reserve_vcc 0
		.amdhsa_float_round_mode_32 0
		.amdhsa_float_round_mode_16_64 0
		.amdhsa_float_denorm_mode_32 3
		.amdhsa_float_denorm_mode_16_64 3
		.amdhsa_fp16_overflow 0
		.amdhsa_memory_ordered 1
		.amdhsa_forward_progress 1
		.amdhsa_inst_pref_size 0
		.amdhsa_round_robin_scheduling 0
		.amdhsa_exception_fp_ieee_invalid_op 0
		.amdhsa_exception_fp_denorm_src 0
		.amdhsa_exception_fp_ieee_div_zero 0
		.amdhsa_exception_fp_ieee_overflow 0
		.amdhsa_exception_fp_ieee_underflow 0
		.amdhsa_exception_fp_ieee_inexact 0
		.amdhsa_exception_int_div_zero 0
	.end_amdhsa_kernel
	.section	.text._ZN7rocprim17ROCPRIM_400000_NS6detail17trampoline_kernelINS0_14default_configENS1_22reduce_config_selectorIN6thrust23THRUST_200600_302600_NS5tupleIbffNS6_9null_typeES8_S8_S8_S8_S8_S8_EEEEZNS1_11reduce_implILb1ES3_NS6_11hip_rocprim26transform_input_iterator_tIS9_NS6_12zip_iteratorINS7_INS6_17counting_iteratorIiNS6_11use_defaultESG_SG_EENS6_6detail15normal_iteratorINS6_10device_ptrIfEEEES8_S8_S8_S8_S8_S8_S8_S8_EEEE15transform_tupleIifEEEPS9_S9_12reduce_tupleIifEEE10hipError_tPvRmT1_T2_T3_mT4_P12ihipStream_tbEUlT_E1_NS1_11comp_targetILNS1_3genE3ELNS1_11target_archE908ELNS1_3gpuE7ELNS1_3repE0EEENS1_30default_config_static_selectorELNS0_4arch9wavefront6targetE0EEEvSY_,"axG",@progbits,_ZN7rocprim17ROCPRIM_400000_NS6detail17trampoline_kernelINS0_14default_configENS1_22reduce_config_selectorIN6thrust23THRUST_200600_302600_NS5tupleIbffNS6_9null_typeES8_S8_S8_S8_S8_S8_EEEEZNS1_11reduce_implILb1ES3_NS6_11hip_rocprim26transform_input_iterator_tIS9_NS6_12zip_iteratorINS7_INS6_17counting_iteratorIiNS6_11use_defaultESG_SG_EENS6_6detail15normal_iteratorINS6_10device_ptrIfEEEES8_S8_S8_S8_S8_S8_S8_S8_EEEE15transform_tupleIifEEEPS9_S9_12reduce_tupleIifEEE10hipError_tPvRmT1_T2_T3_mT4_P12ihipStream_tbEUlT_E1_NS1_11comp_targetILNS1_3genE3ELNS1_11target_archE908ELNS1_3gpuE7ELNS1_3repE0EEENS1_30default_config_static_selectorELNS0_4arch9wavefront6targetE0EEEvSY_,comdat
.Lfunc_end31:
	.size	_ZN7rocprim17ROCPRIM_400000_NS6detail17trampoline_kernelINS0_14default_configENS1_22reduce_config_selectorIN6thrust23THRUST_200600_302600_NS5tupleIbffNS6_9null_typeES8_S8_S8_S8_S8_S8_EEEEZNS1_11reduce_implILb1ES3_NS6_11hip_rocprim26transform_input_iterator_tIS9_NS6_12zip_iteratorINS7_INS6_17counting_iteratorIiNS6_11use_defaultESG_SG_EENS6_6detail15normal_iteratorINS6_10device_ptrIfEEEES8_S8_S8_S8_S8_S8_S8_S8_EEEE15transform_tupleIifEEEPS9_S9_12reduce_tupleIifEEE10hipError_tPvRmT1_T2_T3_mT4_P12ihipStream_tbEUlT_E1_NS1_11comp_targetILNS1_3genE3ELNS1_11target_archE908ELNS1_3gpuE7ELNS1_3repE0EEENS1_30default_config_static_selectorELNS0_4arch9wavefront6targetE0EEEvSY_, .Lfunc_end31-_ZN7rocprim17ROCPRIM_400000_NS6detail17trampoline_kernelINS0_14default_configENS1_22reduce_config_selectorIN6thrust23THRUST_200600_302600_NS5tupleIbffNS6_9null_typeES8_S8_S8_S8_S8_S8_EEEEZNS1_11reduce_implILb1ES3_NS6_11hip_rocprim26transform_input_iterator_tIS9_NS6_12zip_iteratorINS7_INS6_17counting_iteratorIiNS6_11use_defaultESG_SG_EENS6_6detail15normal_iteratorINS6_10device_ptrIfEEEES8_S8_S8_S8_S8_S8_S8_S8_EEEE15transform_tupleIifEEEPS9_S9_12reduce_tupleIifEEE10hipError_tPvRmT1_T2_T3_mT4_P12ihipStream_tbEUlT_E1_NS1_11comp_targetILNS1_3genE3ELNS1_11target_archE908ELNS1_3gpuE7ELNS1_3repE0EEENS1_30default_config_static_selectorELNS0_4arch9wavefront6targetE0EEEvSY_
                                        ; -- End function
	.set _ZN7rocprim17ROCPRIM_400000_NS6detail17trampoline_kernelINS0_14default_configENS1_22reduce_config_selectorIN6thrust23THRUST_200600_302600_NS5tupleIbffNS6_9null_typeES8_S8_S8_S8_S8_S8_EEEEZNS1_11reduce_implILb1ES3_NS6_11hip_rocprim26transform_input_iterator_tIS9_NS6_12zip_iteratorINS7_INS6_17counting_iteratorIiNS6_11use_defaultESG_SG_EENS6_6detail15normal_iteratorINS6_10device_ptrIfEEEES8_S8_S8_S8_S8_S8_S8_S8_EEEE15transform_tupleIifEEEPS9_S9_12reduce_tupleIifEEE10hipError_tPvRmT1_T2_T3_mT4_P12ihipStream_tbEUlT_E1_NS1_11comp_targetILNS1_3genE3ELNS1_11target_archE908ELNS1_3gpuE7ELNS1_3repE0EEENS1_30default_config_static_selectorELNS0_4arch9wavefront6targetE0EEEvSY_.num_vgpr, 0
	.set _ZN7rocprim17ROCPRIM_400000_NS6detail17trampoline_kernelINS0_14default_configENS1_22reduce_config_selectorIN6thrust23THRUST_200600_302600_NS5tupleIbffNS6_9null_typeES8_S8_S8_S8_S8_S8_EEEEZNS1_11reduce_implILb1ES3_NS6_11hip_rocprim26transform_input_iterator_tIS9_NS6_12zip_iteratorINS7_INS6_17counting_iteratorIiNS6_11use_defaultESG_SG_EENS6_6detail15normal_iteratorINS6_10device_ptrIfEEEES8_S8_S8_S8_S8_S8_S8_S8_EEEE15transform_tupleIifEEEPS9_S9_12reduce_tupleIifEEE10hipError_tPvRmT1_T2_T3_mT4_P12ihipStream_tbEUlT_E1_NS1_11comp_targetILNS1_3genE3ELNS1_11target_archE908ELNS1_3gpuE7ELNS1_3repE0EEENS1_30default_config_static_selectorELNS0_4arch9wavefront6targetE0EEEvSY_.num_agpr, 0
	.set _ZN7rocprim17ROCPRIM_400000_NS6detail17trampoline_kernelINS0_14default_configENS1_22reduce_config_selectorIN6thrust23THRUST_200600_302600_NS5tupleIbffNS6_9null_typeES8_S8_S8_S8_S8_S8_EEEEZNS1_11reduce_implILb1ES3_NS6_11hip_rocprim26transform_input_iterator_tIS9_NS6_12zip_iteratorINS7_INS6_17counting_iteratorIiNS6_11use_defaultESG_SG_EENS6_6detail15normal_iteratorINS6_10device_ptrIfEEEES8_S8_S8_S8_S8_S8_S8_S8_EEEE15transform_tupleIifEEEPS9_S9_12reduce_tupleIifEEE10hipError_tPvRmT1_T2_T3_mT4_P12ihipStream_tbEUlT_E1_NS1_11comp_targetILNS1_3genE3ELNS1_11target_archE908ELNS1_3gpuE7ELNS1_3repE0EEENS1_30default_config_static_selectorELNS0_4arch9wavefront6targetE0EEEvSY_.numbered_sgpr, 0
	.set _ZN7rocprim17ROCPRIM_400000_NS6detail17trampoline_kernelINS0_14default_configENS1_22reduce_config_selectorIN6thrust23THRUST_200600_302600_NS5tupleIbffNS6_9null_typeES8_S8_S8_S8_S8_S8_EEEEZNS1_11reduce_implILb1ES3_NS6_11hip_rocprim26transform_input_iterator_tIS9_NS6_12zip_iteratorINS7_INS6_17counting_iteratorIiNS6_11use_defaultESG_SG_EENS6_6detail15normal_iteratorINS6_10device_ptrIfEEEES8_S8_S8_S8_S8_S8_S8_S8_EEEE15transform_tupleIifEEEPS9_S9_12reduce_tupleIifEEE10hipError_tPvRmT1_T2_T3_mT4_P12ihipStream_tbEUlT_E1_NS1_11comp_targetILNS1_3genE3ELNS1_11target_archE908ELNS1_3gpuE7ELNS1_3repE0EEENS1_30default_config_static_selectorELNS0_4arch9wavefront6targetE0EEEvSY_.num_named_barrier, 0
	.set _ZN7rocprim17ROCPRIM_400000_NS6detail17trampoline_kernelINS0_14default_configENS1_22reduce_config_selectorIN6thrust23THRUST_200600_302600_NS5tupleIbffNS6_9null_typeES8_S8_S8_S8_S8_S8_EEEEZNS1_11reduce_implILb1ES3_NS6_11hip_rocprim26transform_input_iterator_tIS9_NS6_12zip_iteratorINS7_INS6_17counting_iteratorIiNS6_11use_defaultESG_SG_EENS6_6detail15normal_iteratorINS6_10device_ptrIfEEEES8_S8_S8_S8_S8_S8_S8_S8_EEEE15transform_tupleIifEEEPS9_S9_12reduce_tupleIifEEE10hipError_tPvRmT1_T2_T3_mT4_P12ihipStream_tbEUlT_E1_NS1_11comp_targetILNS1_3genE3ELNS1_11target_archE908ELNS1_3gpuE7ELNS1_3repE0EEENS1_30default_config_static_selectorELNS0_4arch9wavefront6targetE0EEEvSY_.private_seg_size, 0
	.set _ZN7rocprim17ROCPRIM_400000_NS6detail17trampoline_kernelINS0_14default_configENS1_22reduce_config_selectorIN6thrust23THRUST_200600_302600_NS5tupleIbffNS6_9null_typeES8_S8_S8_S8_S8_S8_EEEEZNS1_11reduce_implILb1ES3_NS6_11hip_rocprim26transform_input_iterator_tIS9_NS6_12zip_iteratorINS7_INS6_17counting_iteratorIiNS6_11use_defaultESG_SG_EENS6_6detail15normal_iteratorINS6_10device_ptrIfEEEES8_S8_S8_S8_S8_S8_S8_S8_EEEE15transform_tupleIifEEEPS9_S9_12reduce_tupleIifEEE10hipError_tPvRmT1_T2_T3_mT4_P12ihipStream_tbEUlT_E1_NS1_11comp_targetILNS1_3genE3ELNS1_11target_archE908ELNS1_3gpuE7ELNS1_3repE0EEENS1_30default_config_static_selectorELNS0_4arch9wavefront6targetE0EEEvSY_.uses_vcc, 0
	.set _ZN7rocprim17ROCPRIM_400000_NS6detail17trampoline_kernelINS0_14default_configENS1_22reduce_config_selectorIN6thrust23THRUST_200600_302600_NS5tupleIbffNS6_9null_typeES8_S8_S8_S8_S8_S8_EEEEZNS1_11reduce_implILb1ES3_NS6_11hip_rocprim26transform_input_iterator_tIS9_NS6_12zip_iteratorINS7_INS6_17counting_iteratorIiNS6_11use_defaultESG_SG_EENS6_6detail15normal_iteratorINS6_10device_ptrIfEEEES8_S8_S8_S8_S8_S8_S8_S8_EEEE15transform_tupleIifEEEPS9_S9_12reduce_tupleIifEEE10hipError_tPvRmT1_T2_T3_mT4_P12ihipStream_tbEUlT_E1_NS1_11comp_targetILNS1_3genE3ELNS1_11target_archE908ELNS1_3gpuE7ELNS1_3repE0EEENS1_30default_config_static_selectorELNS0_4arch9wavefront6targetE0EEEvSY_.uses_flat_scratch, 0
	.set _ZN7rocprim17ROCPRIM_400000_NS6detail17trampoline_kernelINS0_14default_configENS1_22reduce_config_selectorIN6thrust23THRUST_200600_302600_NS5tupleIbffNS6_9null_typeES8_S8_S8_S8_S8_S8_EEEEZNS1_11reduce_implILb1ES3_NS6_11hip_rocprim26transform_input_iterator_tIS9_NS6_12zip_iteratorINS7_INS6_17counting_iteratorIiNS6_11use_defaultESG_SG_EENS6_6detail15normal_iteratorINS6_10device_ptrIfEEEES8_S8_S8_S8_S8_S8_S8_S8_EEEE15transform_tupleIifEEEPS9_S9_12reduce_tupleIifEEE10hipError_tPvRmT1_T2_T3_mT4_P12ihipStream_tbEUlT_E1_NS1_11comp_targetILNS1_3genE3ELNS1_11target_archE908ELNS1_3gpuE7ELNS1_3repE0EEENS1_30default_config_static_selectorELNS0_4arch9wavefront6targetE0EEEvSY_.has_dyn_sized_stack, 0
	.set _ZN7rocprim17ROCPRIM_400000_NS6detail17trampoline_kernelINS0_14default_configENS1_22reduce_config_selectorIN6thrust23THRUST_200600_302600_NS5tupleIbffNS6_9null_typeES8_S8_S8_S8_S8_S8_EEEEZNS1_11reduce_implILb1ES3_NS6_11hip_rocprim26transform_input_iterator_tIS9_NS6_12zip_iteratorINS7_INS6_17counting_iteratorIiNS6_11use_defaultESG_SG_EENS6_6detail15normal_iteratorINS6_10device_ptrIfEEEES8_S8_S8_S8_S8_S8_S8_S8_EEEE15transform_tupleIifEEEPS9_S9_12reduce_tupleIifEEE10hipError_tPvRmT1_T2_T3_mT4_P12ihipStream_tbEUlT_E1_NS1_11comp_targetILNS1_3genE3ELNS1_11target_archE908ELNS1_3gpuE7ELNS1_3repE0EEENS1_30default_config_static_selectorELNS0_4arch9wavefront6targetE0EEEvSY_.has_recursion, 0
	.set _ZN7rocprim17ROCPRIM_400000_NS6detail17trampoline_kernelINS0_14default_configENS1_22reduce_config_selectorIN6thrust23THRUST_200600_302600_NS5tupleIbffNS6_9null_typeES8_S8_S8_S8_S8_S8_EEEEZNS1_11reduce_implILb1ES3_NS6_11hip_rocprim26transform_input_iterator_tIS9_NS6_12zip_iteratorINS7_INS6_17counting_iteratorIiNS6_11use_defaultESG_SG_EENS6_6detail15normal_iteratorINS6_10device_ptrIfEEEES8_S8_S8_S8_S8_S8_S8_S8_EEEE15transform_tupleIifEEEPS9_S9_12reduce_tupleIifEEE10hipError_tPvRmT1_T2_T3_mT4_P12ihipStream_tbEUlT_E1_NS1_11comp_targetILNS1_3genE3ELNS1_11target_archE908ELNS1_3gpuE7ELNS1_3repE0EEENS1_30default_config_static_selectorELNS0_4arch9wavefront6targetE0EEEvSY_.has_indirect_call, 0
	.section	.AMDGPU.csdata,"",@progbits
; Kernel info:
; codeLenInByte = 0
; TotalNumSgprs: 0
; NumVgprs: 0
; ScratchSize: 0
; MemoryBound: 0
; FloatMode: 240
; IeeeMode: 1
; LDSByteSize: 0 bytes/workgroup (compile time only)
; SGPRBlocks: 0
; VGPRBlocks: 0
; NumSGPRsForWavesPerEU: 1
; NumVGPRsForWavesPerEU: 1
; NamedBarCnt: 0
; Occupancy: 16
; WaveLimiterHint : 0
; COMPUTE_PGM_RSRC2:SCRATCH_EN: 0
; COMPUTE_PGM_RSRC2:USER_SGPR: 2
; COMPUTE_PGM_RSRC2:TRAP_HANDLER: 0
; COMPUTE_PGM_RSRC2:TGID_X_EN: 1
; COMPUTE_PGM_RSRC2:TGID_Y_EN: 0
; COMPUTE_PGM_RSRC2:TGID_Z_EN: 0
; COMPUTE_PGM_RSRC2:TIDIG_COMP_CNT: 0
	.section	.text._ZN7rocprim17ROCPRIM_400000_NS6detail17trampoline_kernelINS0_14default_configENS1_22reduce_config_selectorIN6thrust23THRUST_200600_302600_NS5tupleIbffNS6_9null_typeES8_S8_S8_S8_S8_S8_EEEEZNS1_11reduce_implILb1ES3_NS6_11hip_rocprim26transform_input_iterator_tIS9_NS6_12zip_iteratorINS7_INS6_17counting_iteratorIiNS6_11use_defaultESG_SG_EENS6_6detail15normal_iteratorINS6_10device_ptrIfEEEES8_S8_S8_S8_S8_S8_S8_S8_EEEE15transform_tupleIifEEEPS9_S9_12reduce_tupleIifEEE10hipError_tPvRmT1_T2_T3_mT4_P12ihipStream_tbEUlT_E1_NS1_11comp_targetILNS1_3genE2ELNS1_11target_archE906ELNS1_3gpuE6ELNS1_3repE0EEENS1_30default_config_static_selectorELNS0_4arch9wavefront6targetE0EEEvSY_,"axG",@progbits,_ZN7rocprim17ROCPRIM_400000_NS6detail17trampoline_kernelINS0_14default_configENS1_22reduce_config_selectorIN6thrust23THRUST_200600_302600_NS5tupleIbffNS6_9null_typeES8_S8_S8_S8_S8_S8_EEEEZNS1_11reduce_implILb1ES3_NS6_11hip_rocprim26transform_input_iterator_tIS9_NS6_12zip_iteratorINS7_INS6_17counting_iteratorIiNS6_11use_defaultESG_SG_EENS6_6detail15normal_iteratorINS6_10device_ptrIfEEEES8_S8_S8_S8_S8_S8_S8_S8_EEEE15transform_tupleIifEEEPS9_S9_12reduce_tupleIifEEE10hipError_tPvRmT1_T2_T3_mT4_P12ihipStream_tbEUlT_E1_NS1_11comp_targetILNS1_3genE2ELNS1_11target_archE906ELNS1_3gpuE6ELNS1_3repE0EEENS1_30default_config_static_selectorELNS0_4arch9wavefront6targetE0EEEvSY_,comdat
	.protected	_ZN7rocprim17ROCPRIM_400000_NS6detail17trampoline_kernelINS0_14default_configENS1_22reduce_config_selectorIN6thrust23THRUST_200600_302600_NS5tupleIbffNS6_9null_typeES8_S8_S8_S8_S8_S8_EEEEZNS1_11reduce_implILb1ES3_NS6_11hip_rocprim26transform_input_iterator_tIS9_NS6_12zip_iteratorINS7_INS6_17counting_iteratorIiNS6_11use_defaultESG_SG_EENS6_6detail15normal_iteratorINS6_10device_ptrIfEEEES8_S8_S8_S8_S8_S8_S8_S8_EEEE15transform_tupleIifEEEPS9_S9_12reduce_tupleIifEEE10hipError_tPvRmT1_T2_T3_mT4_P12ihipStream_tbEUlT_E1_NS1_11comp_targetILNS1_3genE2ELNS1_11target_archE906ELNS1_3gpuE6ELNS1_3repE0EEENS1_30default_config_static_selectorELNS0_4arch9wavefront6targetE0EEEvSY_ ; -- Begin function _ZN7rocprim17ROCPRIM_400000_NS6detail17trampoline_kernelINS0_14default_configENS1_22reduce_config_selectorIN6thrust23THRUST_200600_302600_NS5tupleIbffNS6_9null_typeES8_S8_S8_S8_S8_S8_EEEEZNS1_11reduce_implILb1ES3_NS6_11hip_rocprim26transform_input_iterator_tIS9_NS6_12zip_iteratorINS7_INS6_17counting_iteratorIiNS6_11use_defaultESG_SG_EENS6_6detail15normal_iteratorINS6_10device_ptrIfEEEES8_S8_S8_S8_S8_S8_S8_S8_EEEE15transform_tupleIifEEEPS9_S9_12reduce_tupleIifEEE10hipError_tPvRmT1_T2_T3_mT4_P12ihipStream_tbEUlT_E1_NS1_11comp_targetILNS1_3genE2ELNS1_11target_archE906ELNS1_3gpuE6ELNS1_3repE0EEENS1_30default_config_static_selectorELNS0_4arch9wavefront6targetE0EEEvSY_
	.globl	_ZN7rocprim17ROCPRIM_400000_NS6detail17trampoline_kernelINS0_14default_configENS1_22reduce_config_selectorIN6thrust23THRUST_200600_302600_NS5tupleIbffNS6_9null_typeES8_S8_S8_S8_S8_S8_EEEEZNS1_11reduce_implILb1ES3_NS6_11hip_rocprim26transform_input_iterator_tIS9_NS6_12zip_iteratorINS7_INS6_17counting_iteratorIiNS6_11use_defaultESG_SG_EENS6_6detail15normal_iteratorINS6_10device_ptrIfEEEES8_S8_S8_S8_S8_S8_S8_S8_EEEE15transform_tupleIifEEEPS9_S9_12reduce_tupleIifEEE10hipError_tPvRmT1_T2_T3_mT4_P12ihipStream_tbEUlT_E1_NS1_11comp_targetILNS1_3genE2ELNS1_11target_archE906ELNS1_3gpuE6ELNS1_3repE0EEENS1_30default_config_static_selectorELNS0_4arch9wavefront6targetE0EEEvSY_
	.p2align	8
	.type	_ZN7rocprim17ROCPRIM_400000_NS6detail17trampoline_kernelINS0_14default_configENS1_22reduce_config_selectorIN6thrust23THRUST_200600_302600_NS5tupleIbffNS6_9null_typeES8_S8_S8_S8_S8_S8_EEEEZNS1_11reduce_implILb1ES3_NS6_11hip_rocprim26transform_input_iterator_tIS9_NS6_12zip_iteratorINS7_INS6_17counting_iteratorIiNS6_11use_defaultESG_SG_EENS6_6detail15normal_iteratorINS6_10device_ptrIfEEEES8_S8_S8_S8_S8_S8_S8_S8_EEEE15transform_tupleIifEEEPS9_S9_12reduce_tupleIifEEE10hipError_tPvRmT1_T2_T3_mT4_P12ihipStream_tbEUlT_E1_NS1_11comp_targetILNS1_3genE2ELNS1_11target_archE906ELNS1_3gpuE6ELNS1_3repE0EEENS1_30default_config_static_selectorELNS0_4arch9wavefront6targetE0EEEvSY_,@function
_ZN7rocprim17ROCPRIM_400000_NS6detail17trampoline_kernelINS0_14default_configENS1_22reduce_config_selectorIN6thrust23THRUST_200600_302600_NS5tupleIbffNS6_9null_typeES8_S8_S8_S8_S8_S8_EEEEZNS1_11reduce_implILb1ES3_NS6_11hip_rocprim26transform_input_iterator_tIS9_NS6_12zip_iteratorINS7_INS6_17counting_iteratorIiNS6_11use_defaultESG_SG_EENS6_6detail15normal_iteratorINS6_10device_ptrIfEEEES8_S8_S8_S8_S8_S8_S8_S8_EEEE15transform_tupleIifEEEPS9_S9_12reduce_tupleIifEEE10hipError_tPvRmT1_T2_T3_mT4_P12ihipStream_tbEUlT_E1_NS1_11comp_targetILNS1_3genE2ELNS1_11target_archE906ELNS1_3gpuE6ELNS1_3repE0EEENS1_30default_config_static_selectorELNS0_4arch9wavefront6targetE0EEEvSY_: ; @_ZN7rocprim17ROCPRIM_400000_NS6detail17trampoline_kernelINS0_14default_configENS1_22reduce_config_selectorIN6thrust23THRUST_200600_302600_NS5tupleIbffNS6_9null_typeES8_S8_S8_S8_S8_S8_EEEEZNS1_11reduce_implILb1ES3_NS6_11hip_rocprim26transform_input_iterator_tIS9_NS6_12zip_iteratorINS7_INS6_17counting_iteratorIiNS6_11use_defaultESG_SG_EENS6_6detail15normal_iteratorINS6_10device_ptrIfEEEES8_S8_S8_S8_S8_S8_S8_S8_EEEE15transform_tupleIifEEEPS9_S9_12reduce_tupleIifEEE10hipError_tPvRmT1_T2_T3_mT4_P12ihipStream_tbEUlT_E1_NS1_11comp_targetILNS1_3genE2ELNS1_11target_archE906ELNS1_3gpuE6ELNS1_3repE0EEENS1_30default_config_static_selectorELNS0_4arch9wavefront6targetE0EEEvSY_
; %bb.0:
	.section	.rodata,"a",@progbits
	.p2align	6, 0x0
	.amdhsa_kernel _ZN7rocprim17ROCPRIM_400000_NS6detail17trampoline_kernelINS0_14default_configENS1_22reduce_config_selectorIN6thrust23THRUST_200600_302600_NS5tupleIbffNS6_9null_typeES8_S8_S8_S8_S8_S8_EEEEZNS1_11reduce_implILb1ES3_NS6_11hip_rocprim26transform_input_iterator_tIS9_NS6_12zip_iteratorINS7_INS6_17counting_iteratorIiNS6_11use_defaultESG_SG_EENS6_6detail15normal_iteratorINS6_10device_ptrIfEEEES8_S8_S8_S8_S8_S8_S8_S8_EEEE15transform_tupleIifEEEPS9_S9_12reduce_tupleIifEEE10hipError_tPvRmT1_T2_T3_mT4_P12ihipStream_tbEUlT_E1_NS1_11comp_targetILNS1_3genE2ELNS1_11target_archE906ELNS1_3gpuE6ELNS1_3repE0EEENS1_30default_config_static_selectorELNS0_4arch9wavefront6targetE0EEEvSY_
		.amdhsa_group_segment_fixed_size 0
		.amdhsa_private_segment_fixed_size 0
		.amdhsa_kernarg_size 64
		.amdhsa_user_sgpr_count 2
		.amdhsa_user_sgpr_dispatch_ptr 0
		.amdhsa_user_sgpr_queue_ptr 0
		.amdhsa_user_sgpr_kernarg_segment_ptr 1
		.amdhsa_user_sgpr_dispatch_id 0
		.amdhsa_user_sgpr_kernarg_preload_length 0
		.amdhsa_user_sgpr_kernarg_preload_offset 0
		.amdhsa_user_sgpr_private_segment_size 0
		.amdhsa_wavefront_size32 1
		.amdhsa_uses_dynamic_stack 0
		.amdhsa_enable_private_segment 0
		.amdhsa_system_sgpr_workgroup_id_x 1
		.amdhsa_system_sgpr_workgroup_id_y 0
		.amdhsa_system_sgpr_workgroup_id_z 0
		.amdhsa_system_sgpr_workgroup_info 0
		.amdhsa_system_vgpr_workitem_id 0
		.amdhsa_next_free_vgpr 1
		.amdhsa_next_free_sgpr 1
		.amdhsa_named_barrier_count 0
		.amdhsa_reserve_vcc 0
		.amdhsa_float_round_mode_32 0
		.amdhsa_float_round_mode_16_64 0
		.amdhsa_float_denorm_mode_32 3
		.amdhsa_float_denorm_mode_16_64 3
		.amdhsa_fp16_overflow 0
		.amdhsa_memory_ordered 1
		.amdhsa_forward_progress 1
		.amdhsa_inst_pref_size 0
		.amdhsa_round_robin_scheduling 0
		.amdhsa_exception_fp_ieee_invalid_op 0
		.amdhsa_exception_fp_denorm_src 0
		.amdhsa_exception_fp_ieee_div_zero 0
		.amdhsa_exception_fp_ieee_overflow 0
		.amdhsa_exception_fp_ieee_underflow 0
		.amdhsa_exception_fp_ieee_inexact 0
		.amdhsa_exception_int_div_zero 0
	.end_amdhsa_kernel
	.section	.text._ZN7rocprim17ROCPRIM_400000_NS6detail17trampoline_kernelINS0_14default_configENS1_22reduce_config_selectorIN6thrust23THRUST_200600_302600_NS5tupleIbffNS6_9null_typeES8_S8_S8_S8_S8_S8_EEEEZNS1_11reduce_implILb1ES3_NS6_11hip_rocprim26transform_input_iterator_tIS9_NS6_12zip_iteratorINS7_INS6_17counting_iteratorIiNS6_11use_defaultESG_SG_EENS6_6detail15normal_iteratorINS6_10device_ptrIfEEEES8_S8_S8_S8_S8_S8_S8_S8_EEEE15transform_tupleIifEEEPS9_S9_12reduce_tupleIifEEE10hipError_tPvRmT1_T2_T3_mT4_P12ihipStream_tbEUlT_E1_NS1_11comp_targetILNS1_3genE2ELNS1_11target_archE906ELNS1_3gpuE6ELNS1_3repE0EEENS1_30default_config_static_selectorELNS0_4arch9wavefront6targetE0EEEvSY_,"axG",@progbits,_ZN7rocprim17ROCPRIM_400000_NS6detail17trampoline_kernelINS0_14default_configENS1_22reduce_config_selectorIN6thrust23THRUST_200600_302600_NS5tupleIbffNS6_9null_typeES8_S8_S8_S8_S8_S8_EEEEZNS1_11reduce_implILb1ES3_NS6_11hip_rocprim26transform_input_iterator_tIS9_NS6_12zip_iteratorINS7_INS6_17counting_iteratorIiNS6_11use_defaultESG_SG_EENS6_6detail15normal_iteratorINS6_10device_ptrIfEEEES8_S8_S8_S8_S8_S8_S8_S8_EEEE15transform_tupleIifEEEPS9_S9_12reduce_tupleIifEEE10hipError_tPvRmT1_T2_T3_mT4_P12ihipStream_tbEUlT_E1_NS1_11comp_targetILNS1_3genE2ELNS1_11target_archE906ELNS1_3gpuE6ELNS1_3repE0EEENS1_30default_config_static_selectorELNS0_4arch9wavefront6targetE0EEEvSY_,comdat
.Lfunc_end32:
	.size	_ZN7rocprim17ROCPRIM_400000_NS6detail17trampoline_kernelINS0_14default_configENS1_22reduce_config_selectorIN6thrust23THRUST_200600_302600_NS5tupleIbffNS6_9null_typeES8_S8_S8_S8_S8_S8_EEEEZNS1_11reduce_implILb1ES3_NS6_11hip_rocprim26transform_input_iterator_tIS9_NS6_12zip_iteratorINS7_INS6_17counting_iteratorIiNS6_11use_defaultESG_SG_EENS6_6detail15normal_iteratorINS6_10device_ptrIfEEEES8_S8_S8_S8_S8_S8_S8_S8_EEEE15transform_tupleIifEEEPS9_S9_12reduce_tupleIifEEE10hipError_tPvRmT1_T2_T3_mT4_P12ihipStream_tbEUlT_E1_NS1_11comp_targetILNS1_3genE2ELNS1_11target_archE906ELNS1_3gpuE6ELNS1_3repE0EEENS1_30default_config_static_selectorELNS0_4arch9wavefront6targetE0EEEvSY_, .Lfunc_end32-_ZN7rocprim17ROCPRIM_400000_NS6detail17trampoline_kernelINS0_14default_configENS1_22reduce_config_selectorIN6thrust23THRUST_200600_302600_NS5tupleIbffNS6_9null_typeES8_S8_S8_S8_S8_S8_EEEEZNS1_11reduce_implILb1ES3_NS6_11hip_rocprim26transform_input_iterator_tIS9_NS6_12zip_iteratorINS7_INS6_17counting_iteratorIiNS6_11use_defaultESG_SG_EENS6_6detail15normal_iteratorINS6_10device_ptrIfEEEES8_S8_S8_S8_S8_S8_S8_S8_EEEE15transform_tupleIifEEEPS9_S9_12reduce_tupleIifEEE10hipError_tPvRmT1_T2_T3_mT4_P12ihipStream_tbEUlT_E1_NS1_11comp_targetILNS1_3genE2ELNS1_11target_archE906ELNS1_3gpuE6ELNS1_3repE0EEENS1_30default_config_static_selectorELNS0_4arch9wavefront6targetE0EEEvSY_
                                        ; -- End function
	.set _ZN7rocprim17ROCPRIM_400000_NS6detail17trampoline_kernelINS0_14default_configENS1_22reduce_config_selectorIN6thrust23THRUST_200600_302600_NS5tupleIbffNS6_9null_typeES8_S8_S8_S8_S8_S8_EEEEZNS1_11reduce_implILb1ES3_NS6_11hip_rocprim26transform_input_iterator_tIS9_NS6_12zip_iteratorINS7_INS6_17counting_iteratorIiNS6_11use_defaultESG_SG_EENS6_6detail15normal_iteratorINS6_10device_ptrIfEEEES8_S8_S8_S8_S8_S8_S8_S8_EEEE15transform_tupleIifEEEPS9_S9_12reduce_tupleIifEEE10hipError_tPvRmT1_T2_T3_mT4_P12ihipStream_tbEUlT_E1_NS1_11comp_targetILNS1_3genE2ELNS1_11target_archE906ELNS1_3gpuE6ELNS1_3repE0EEENS1_30default_config_static_selectorELNS0_4arch9wavefront6targetE0EEEvSY_.num_vgpr, 0
	.set _ZN7rocprim17ROCPRIM_400000_NS6detail17trampoline_kernelINS0_14default_configENS1_22reduce_config_selectorIN6thrust23THRUST_200600_302600_NS5tupleIbffNS6_9null_typeES8_S8_S8_S8_S8_S8_EEEEZNS1_11reduce_implILb1ES3_NS6_11hip_rocprim26transform_input_iterator_tIS9_NS6_12zip_iteratorINS7_INS6_17counting_iteratorIiNS6_11use_defaultESG_SG_EENS6_6detail15normal_iteratorINS6_10device_ptrIfEEEES8_S8_S8_S8_S8_S8_S8_S8_EEEE15transform_tupleIifEEEPS9_S9_12reduce_tupleIifEEE10hipError_tPvRmT1_T2_T3_mT4_P12ihipStream_tbEUlT_E1_NS1_11comp_targetILNS1_3genE2ELNS1_11target_archE906ELNS1_3gpuE6ELNS1_3repE0EEENS1_30default_config_static_selectorELNS0_4arch9wavefront6targetE0EEEvSY_.num_agpr, 0
	.set _ZN7rocprim17ROCPRIM_400000_NS6detail17trampoline_kernelINS0_14default_configENS1_22reduce_config_selectorIN6thrust23THRUST_200600_302600_NS5tupleIbffNS6_9null_typeES8_S8_S8_S8_S8_S8_EEEEZNS1_11reduce_implILb1ES3_NS6_11hip_rocprim26transform_input_iterator_tIS9_NS6_12zip_iteratorINS7_INS6_17counting_iteratorIiNS6_11use_defaultESG_SG_EENS6_6detail15normal_iteratorINS6_10device_ptrIfEEEES8_S8_S8_S8_S8_S8_S8_S8_EEEE15transform_tupleIifEEEPS9_S9_12reduce_tupleIifEEE10hipError_tPvRmT1_T2_T3_mT4_P12ihipStream_tbEUlT_E1_NS1_11comp_targetILNS1_3genE2ELNS1_11target_archE906ELNS1_3gpuE6ELNS1_3repE0EEENS1_30default_config_static_selectorELNS0_4arch9wavefront6targetE0EEEvSY_.numbered_sgpr, 0
	.set _ZN7rocprim17ROCPRIM_400000_NS6detail17trampoline_kernelINS0_14default_configENS1_22reduce_config_selectorIN6thrust23THRUST_200600_302600_NS5tupleIbffNS6_9null_typeES8_S8_S8_S8_S8_S8_EEEEZNS1_11reduce_implILb1ES3_NS6_11hip_rocprim26transform_input_iterator_tIS9_NS6_12zip_iteratorINS7_INS6_17counting_iteratorIiNS6_11use_defaultESG_SG_EENS6_6detail15normal_iteratorINS6_10device_ptrIfEEEES8_S8_S8_S8_S8_S8_S8_S8_EEEE15transform_tupleIifEEEPS9_S9_12reduce_tupleIifEEE10hipError_tPvRmT1_T2_T3_mT4_P12ihipStream_tbEUlT_E1_NS1_11comp_targetILNS1_3genE2ELNS1_11target_archE906ELNS1_3gpuE6ELNS1_3repE0EEENS1_30default_config_static_selectorELNS0_4arch9wavefront6targetE0EEEvSY_.num_named_barrier, 0
	.set _ZN7rocprim17ROCPRIM_400000_NS6detail17trampoline_kernelINS0_14default_configENS1_22reduce_config_selectorIN6thrust23THRUST_200600_302600_NS5tupleIbffNS6_9null_typeES8_S8_S8_S8_S8_S8_EEEEZNS1_11reduce_implILb1ES3_NS6_11hip_rocprim26transform_input_iterator_tIS9_NS6_12zip_iteratorINS7_INS6_17counting_iteratorIiNS6_11use_defaultESG_SG_EENS6_6detail15normal_iteratorINS6_10device_ptrIfEEEES8_S8_S8_S8_S8_S8_S8_S8_EEEE15transform_tupleIifEEEPS9_S9_12reduce_tupleIifEEE10hipError_tPvRmT1_T2_T3_mT4_P12ihipStream_tbEUlT_E1_NS1_11comp_targetILNS1_3genE2ELNS1_11target_archE906ELNS1_3gpuE6ELNS1_3repE0EEENS1_30default_config_static_selectorELNS0_4arch9wavefront6targetE0EEEvSY_.private_seg_size, 0
	.set _ZN7rocprim17ROCPRIM_400000_NS6detail17trampoline_kernelINS0_14default_configENS1_22reduce_config_selectorIN6thrust23THRUST_200600_302600_NS5tupleIbffNS6_9null_typeES8_S8_S8_S8_S8_S8_EEEEZNS1_11reduce_implILb1ES3_NS6_11hip_rocprim26transform_input_iterator_tIS9_NS6_12zip_iteratorINS7_INS6_17counting_iteratorIiNS6_11use_defaultESG_SG_EENS6_6detail15normal_iteratorINS6_10device_ptrIfEEEES8_S8_S8_S8_S8_S8_S8_S8_EEEE15transform_tupleIifEEEPS9_S9_12reduce_tupleIifEEE10hipError_tPvRmT1_T2_T3_mT4_P12ihipStream_tbEUlT_E1_NS1_11comp_targetILNS1_3genE2ELNS1_11target_archE906ELNS1_3gpuE6ELNS1_3repE0EEENS1_30default_config_static_selectorELNS0_4arch9wavefront6targetE0EEEvSY_.uses_vcc, 0
	.set _ZN7rocprim17ROCPRIM_400000_NS6detail17trampoline_kernelINS0_14default_configENS1_22reduce_config_selectorIN6thrust23THRUST_200600_302600_NS5tupleIbffNS6_9null_typeES8_S8_S8_S8_S8_S8_EEEEZNS1_11reduce_implILb1ES3_NS6_11hip_rocprim26transform_input_iterator_tIS9_NS6_12zip_iteratorINS7_INS6_17counting_iteratorIiNS6_11use_defaultESG_SG_EENS6_6detail15normal_iteratorINS6_10device_ptrIfEEEES8_S8_S8_S8_S8_S8_S8_S8_EEEE15transform_tupleIifEEEPS9_S9_12reduce_tupleIifEEE10hipError_tPvRmT1_T2_T3_mT4_P12ihipStream_tbEUlT_E1_NS1_11comp_targetILNS1_3genE2ELNS1_11target_archE906ELNS1_3gpuE6ELNS1_3repE0EEENS1_30default_config_static_selectorELNS0_4arch9wavefront6targetE0EEEvSY_.uses_flat_scratch, 0
	.set _ZN7rocprim17ROCPRIM_400000_NS6detail17trampoline_kernelINS0_14default_configENS1_22reduce_config_selectorIN6thrust23THRUST_200600_302600_NS5tupleIbffNS6_9null_typeES8_S8_S8_S8_S8_S8_EEEEZNS1_11reduce_implILb1ES3_NS6_11hip_rocprim26transform_input_iterator_tIS9_NS6_12zip_iteratorINS7_INS6_17counting_iteratorIiNS6_11use_defaultESG_SG_EENS6_6detail15normal_iteratorINS6_10device_ptrIfEEEES8_S8_S8_S8_S8_S8_S8_S8_EEEE15transform_tupleIifEEEPS9_S9_12reduce_tupleIifEEE10hipError_tPvRmT1_T2_T3_mT4_P12ihipStream_tbEUlT_E1_NS1_11comp_targetILNS1_3genE2ELNS1_11target_archE906ELNS1_3gpuE6ELNS1_3repE0EEENS1_30default_config_static_selectorELNS0_4arch9wavefront6targetE0EEEvSY_.has_dyn_sized_stack, 0
	.set _ZN7rocprim17ROCPRIM_400000_NS6detail17trampoline_kernelINS0_14default_configENS1_22reduce_config_selectorIN6thrust23THRUST_200600_302600_NS5tupleIbffNS6_9null_typeES8_S8_S8_S8_S8_S8_EEEEZNS1_11reduce_implILb1ES3_NS6_11hip_rocprim26transform_input_iterator_tIS9_NS6_12zip_iteratorINS7_INS6_17counting_iteratorIiNS6_11use_defaultESG_SG_EENS6_6detail15normal_iteratorINS6_10device_ptrIfEEEES8_S8_S8_S8_S8_S8_S8_S8_EEEE15transform_tupleIifEEEPS9_S9_12reduce_tupleIifEEE10hipError_tPvRmT1_T2_T3_mT4_P12ihipStream_tbEUlT_E1_NS1_11comp_targetILNS1_3genE2ELNS1_11target_archE906ELNS1_3gpuE6ELNS1_3repE0EEENS1_30default_config_static_selectorELNS0_4arch9wavefront6targetE0EEEvSY_.has_recursion, 0
	.set _ZN7rocprim17ROCPRIM_400000_NS6detail17trampoline_kernelINS0_14default_configENS1_22reduce_config_selectorIN6thrust23THRUST_200600_302600_NS5tupleIbffNS6_9null_typeES8_S8_S8_S8_S8_S8_EEEEZNS1_11reduce_implILb1ES3_NS6_11hip_rocprim26transform_input_iterator_tIS9_NS6_12zip_iteratorINS7_INS6_17counting_iteratorIiNS6_11use_defaultESG_SG_EENS6_6detail15normal_iteratorINS6_10device_ptrIfEEEES8_S8_S8_S8_S8_S8_S8_S8_EEEE15transform_tupleIifEEEPS9_S9_12reduce_tupleIifEEE10hipError_tPvRmT1_T2_T3_mT4_P12ihipStream_tbEUlT_E1_NS1_11comp_targetILNS1_3genE2ELNS1_11target_archE906ELNS1_3gpuE6ELNS1_3repE0EEENS1_30default_config_static_selectorELNS0_4arch9wavefront6targetE0EEEvSY_.has_indirect_call, 0
	.section	.AMDGPU.csdata,"",@progbits
; Kernel info:
; codeLenInByte = 0
; TotalNumSgprs: 0
; NumVgprs: 0
; ScratchSize: 0
; MemoryBound: 0
; FloatMode: 240
; IeeeMode: 1
; LDSByteSize: 0 bytes/workgroup (compile time only)
; SGPRBlocks: 0
; VGPRBlocks: 0
; NumSGPRsForWavesPerEU: 1
; NumVGPRsForWavesPerEU: 1
; NamedBarCnt: 0
; Occupancy: 16
; WaveLimiterHint : 0
; COMPUTE_PGM_RSRC2:SCRATCH_EN: 0
; COMPUTE_PGM_RSRC2:USER_SGPR: 2
; COMPUTE_PGM_RSRC2:TRAP_HANDLER: 0
; COMPUTE_PGM_RSRC2:TGID_X_EN: 1
; COMPUTE_PGM_RSRC2:TGID_Y_EN: 0
; COMPUTE_PGM_RSRC2:TGID_Z_EN: 0
; COMPUTE_PGM_RSRC2:TIDIG_COMP_CNT: 0
	.section	.text._ZN7rocprim17ROCPRIM_400000_NS6detail17trampoline_kernelINS0_14default_configENS1_22reduce_config_selectorIN6thrust23THRUST_200600_302600_NS5tupleIbffNS6_9null_typeES8_S8_S8_S8_S8_S8_EEEEZNS1_11reduce_implILb1ES3_NS6_11hip_rocprim26transform_input_iterator_tIS9_NS6_12zip_iteratorINS7_INS6_17counting_iteratorIiNS6_11use_defaultESG_SG_EENS6_6detail15normal_iteratorINS6_10device_ptrIfEEEES8_S8_S8_S8_S8_S8_S8_S8_EEEE15transform_tupleIifEEEPS9_S9_12reduce_tupleIifEEE10hipError_tPvRmT1_T2_T3_mT4_P12ihipStream_tbEUlT_E1_NS1_11comp_targetILNS1_3genE10ELNS1_11target_archE1201ELNS1_3gpuE5ELNS1_3repE0EEENS1_30default_config_static_selectorELNS0_4arch9wavefront6targetE0EEEvSY_,"axG",@progbits,_ZN7rocprim17ROCPRIM_400000_NS6detail17trampoline_kernelINS0_14default_configENS1_22reduce_config_selectorIN6thrust23THRUST_200600_302600_NS5tupleIbffNS6_9null_typeES8_S8_S8_S8_S8_S8_EEEEZNS1_11reduce_implILb1ES3_NS6_11hip_rocprim26transform_input_iterator_tIS9_NS6_12zip_iteratorINS7_INS6_17counting_iteratorIiNS6_11use_defaultESG_SG_EENS6_6detail15normal_iteratorINS6_10device_ptrIfEEEES8_S8_S8_S8_S8_S8_S8_S8_EEEE15transform_tupleIifEEEPS9_S9_12reduce_tupleIifEEE10hipError_tPvRmT1_T2_T3_mT4_P12ihipStream_tbEUlT_E1_NS1_11comp_targetILNS1_3genE10ELNS1_11target_archE1201ELNS1_3gpuE5ELNS1_3repE0EEENS1_30default_config_static_selectorELNS0_4arch9wavefront6targetE0EEEvSY_,comdat
	.protected	_ZN7rocprim17ROCPRIM_400000_NS6detail17trampoline_kernelINS0_14default_configENS1_22reduce_config_selectorIN6thrust23THRUST_200600_302600_NS5tupleIbffNS6_9null_typeES8_S8_S8_S8_S8_S8_EEEEZNS1_11reduce_implILb1ES3_NS6_11hip_rocprim26transform_input_iterator_tIS9_NS6_12zip_iteratorINS7_INS6_17counting_iteratorIiNS6_11use_defaultESG_SG_EENS6_6detail15normal_iteratorINS6_10device_ptrIfEEEES8_S8_S8_S8_S8_S8_S8_S8_EEEE15transform_tupleIifEEEPS9_S9_12reduce_tupleIifEEE10hipError_tPvRmT1_T2_T3_mT4_P12ihipStream_tbEUlT_E1_NS1_11comp_targetILNS1_3genE10ELNS1_11target_archE1201ELNS1_3gpuE5ELNS1_3repE0EEENS1_30default_config_static_selectorELNS0_4arch9wavefront6targetE0EEEvSY_ ; -- Begin function _ZN7rocprim17ROCPRIM_400000_NS6detail17trampoline_kernelINS0_14default_configENS1_22reduce_config_selectorIN6thrust23THRUST_200600_302600_NS5tupleIbffNS6_9null_typeES8_S8_S8_S8_S8_S8_EEEEZNS1_11reduce_implILb1ES3_NS6_11hip_rocprim26transform_input_iterator_tIS9_NS6_12zip_iteratorINS7_INS6_17counting_iteratorIiNS6_11use_defaultESG_SG_EENS6_6detail15normal_iteratorINS6_10device_ptrIfEEEES8_S8_S8_S8_S8_S8_S8_S8_EEEE15transform_tupleIifEEEPS9_S9_12reduce_tupleIifEEE10hipError_tPvRmT1_T2_T3_mT4_P12ihipStream_tbEUlT_E1_NS1_11comp_targetILNS1_3genE10ELNS1_11target_archE1201ELNS1_3gpuE5ELNS1_3repE0EEENS1_30default_config_static_selectorELNS0_4arch9wavefront6targetE0EEEvSY_
	.globl	_ZN7rocprim17ROCPRIM_400000_NS6detail17trampoline_kernelINS0_14default_configENS1_22reduce_config_selectorIN6thrust23THRUST_200600_302600_NS5tupleIbffNS6_9null_typeES8_S8_S8_S8_S8_S8_EEEEZNS1_11reduce_implILb1ES3_NS6_11hip_rocprim26transform_input_iterator_tIS9_NS6_12zip_iteratorINS7_INS6_17counting_iteratorIiNS6_11use_defaultESG_SG_EENS6_6detail15normal_iteratorINS6_10device_ptrIfEEEES8_S8_S8_S8_S8_S8_S8_S8_EEEE15transform_tupleIifEEEPS9_S9_12reduce_tupleIifEEE10hipError_tPvRmT1_T2_T3_mT4_P12ihipStream_tbEUlT_E1_NS1_11comp_targetILNS1_3genE10ELNS1_11target_archE1201ELNS1_3gpuE5ELNS1_3repE0EEENS1_30default_config_static_selectorELNS0_4arch9wavefront6targetE0EEEvSY_
	.p2align	8
	.type	_ZN7rocprim17ROCPRIM_400000_NS6detail17trampoline_kernelINS0_14default_configENS1_22reduce_config_selectorIN6thrust23THRUST_200600_302600_NS5tupleIbffNS6_9null_typeES8_S8_S8_S8_S8_S8_EEEEZNS1_11reduce_implILb1ES3_NS6_11hip_rocprim26transform_input_iterator_tIS9_NS6_12zip_iteratorINS7_INS6_17counting_iteratorIiNS6_11use_defaultESG_SG_EENS6_6detail15normal_iteratorINS6_10device_ptrIfEEEES8_S8_S8_S8_S8_S8_S8_S8_EEEE15transform_tupleIifEEEPS9_S9_12reduce_tupleIifEEE10hipError_tPvRmT1_T2_T3_mT4_P12ihipStream_tbEUlT_E1_NS1_11comp_targetILNS1_3genE10ELNS1_11target_archE1201ELNS1_3gpuE5ELNS1_3repE0EEENS1_30default_config_static_selectorELNS0_4arch9wavefront6targetE0EEEvSY_,@function
_ZN7rocprim17ROCPRIM_400000_NS6detail17trampoline_kernelINS0_14default_configENS1_22reduce_config_selectorIN6thrust23THRUST_200600_302600_NS5tupleIbffNS6_9null_typeES8_S8_S8_S8_S8_S8_EEEEZNS1_11reduce_implILb1ES3_NS6_11hip_rocprim26transform_input_iterator_tIS9_NS6_12zip_iteratorINS7_INS6_17counting_iteratorIiNS6_11use_defaultESG_SG_EENS6_6detail15normal_iteratorINS6_10device_ptrIfEEEES8_S8_S8_S8_S8_S8_S8_S8_EEEE15transform_tupleIifEEEPS9_S9_12reduce_tupleIifEEE10hipError_tPvRmT1_T2_T3_mT4_P12ihipStream_tbEUlT_E1_NS1_11comp_targetILNS1_3genE10ELNS1_11target_archE1201ELNS1_3gpuE5ELNS1_3repE0EEENS1_30default_config_static_selectorELNS0_4arch9wavefront6targetE0EEEvSY_: ; @_ZN7rocprim17ROCPRIM_400000_NS6detail17trampoline_kernelINS0_14default_configENS1_22reduce_config_selectorIN6thrust23THRUST_200600_302600_NS5tupleIbffNS6_9null_typeES8_S8_S8_S8_S8_S8_EEEEZNS1_11reduce_implILb1ES3_NS6_11hip_rocprim26transform_input_iterator_tIS9_NS6_12zip_iteratorINS7_INS6_17counting_iteratorIiNS6_11use_defaultESG_SG_EENS6_6detail15normal_iteratorINS6_10device_ptrIfEEEES8_S8_S8_S8_S8_S8_S8_S8_EEEE15transform_tupleIifEEEPS9_S9_12reduce_tupleIifEEE10hipError_tPvRmT1_T2_T3_mT4_P12ihipStream_tbEUlT_E1_NS1_11comp_targetILNS1_3genE10ELNS1_11target_archE1201ELNS1_3gpuE5ELNS1_3repE0EEENS1_30default_config_static_selectorELNS0_4arch9wavefront6targetE0EEEvSY_
; %bb.0:
	.section	.rodata,"a",@progbits
	.p2align	6, 0x0
	.amdhsa_kernel _ZN7rocprim17ROCPRIM_400000_NS6detail17trampoline_kernelINS0_14default_configENS1_22reduce_config_selectorIN6thrust23THRUST_200600_302600_NS5tupleIbffNS6_9null_typeES8_S8_S8_S8_S8_S8_EEEEZNS1_11reduce_implILb1ES3_NS6_11hip_rocprim26transform_input_iterator_tIS9_NS6_12zip_iteratorINS7_INS6_17counting_iteratorIiNS6_11use_defaultESG_SG_EENS6_6detail15normal_iteratorINS6_10device_ptrIfEEEES8_S8_S8_S8_S8_S8_S8_S8_EEEE15transform_tupleIifEEEPS9_S9_12reduce_tupleIifEEE10hipError_tPvRmT1_T2_T3_mT4_P12ihipStream_tbEUlT_E1_NS1_11comp_targetILNS1_3genE10ELNS1_11target_archE1201ELNS1_3gpuE5ELNS1_3repE0EEENS1_30default_config_static_selectorELNS0_4arch9wavefront6targetE0EEEvSY_
		.amdhsa_group_segment_fixed_size 0
		.amdhsa_private_segment_fixed_size 0
		.amdhsa_kernarg_size 64
		.amdhsa_user_sgpr_count 2
		.amdhsa_user_sgpr_dispatch_ptr 0
		.amdhsa_user_sgpr_queue_ptr 0
		.amdhsa_user_sgpr_kernarg_segment_ptr 1
		.amdhsa_user_sgpr_dispatch_id 0
		.amdhsa_user_sgpr_kernarg_preload_length 0
		.amdhsa_user_sgpr_kernarg_preload_offset 0
		.amdhsa_user_sgpr_private_segment_size 0
		.amdhsa_wavefront_size32 1
		.amdhsa_uses_dynamic_stack 0
		.amdhsa_enable_private_segment 0
		.amdhsa_system_sgpr_workgroup_id_x 1
		.amdhsa_system_sgpr_workgroup_id_y 0
		.amdhsa_system_sgpr_workgroup_id_z 0
		.amdhsa_system_sgpr_workgroup_info 0
		.amdhsa_system_vgpr_workitem_id 0
		.amdhsa_next_free_vgpr 1
		.amdhsa_next_free_sgpr 1
		.amdhsa_named_barrier_count 0
		.amdhsa_reserve_vcc 0
		.amdhsa_float_round_mode_32 0
		.amdhsa_float_round_mode_16_64 0
		.amdhsa_float_denorm_mode_32 3
		.amdhsa_float_denorm_mode_16_64 3
		.amdhsa_fp16_overflow 0
		.amdhsa_memory_ordered 1
		.amdhsa_forward_progress 1
		.amdhsa_inst_pref_size 0
		.amdhsa_round_robin_scheduling 0
		.amdhsa_exception_fp_ieee_invalid_op 0
		.amdhsa_exception_fp_denorm_src 0
		.amdhsa_exception_fp_ieee_div_zero 0
		.amdhsa_exception_fp_ieee_overflow 0
		.amdhsa_exception_fp_ieee_underflow 0
		.amdhsa_exception_fp_ieee_inexact 0
		.amdhsa_exception_int_div_zero 0
	.end_amdhsa_kernel
	.section	.text._ZN7rocprim17ROCPRIM_400000_NS6detail17trampoline_kernelINS0_14default_configENS1_22reduce_config_selectorIN6thrust23THRUST_200600_302600_NS5tupleIbffNS6_9null_typeES8_S8_S8_S8_S8_S8_EEEEZNS1_11reduce_implILb1ES3_NS6_11hip_rocprim26transform_input_iterator_tIS9_NS6_12zip_iteratorINS7_INS6_17counting_iteratorIiNS6_11use_defaultESG_SG_EENS6_6detail15normal_iteratorINS6_10device_ptrIfEEEES8_S8_S8_S8_S8_S8_S8_S8_EEEE15transform_tupleIifEEEPS9_S9_12reduce_tupleIifEEE10hipError_tPvRmT1_T2_T3_mT4_P12ihipStream_tbEUlT_E1_NS1_11comp_targetILNS1_3genE10ELNS1_11target_archE1201ELNS1_3gpuE5ELNS1_3repE0EEENS1_30default_config_static_selectorELNS0_4arch9wavefront6targetE0EEEvSY_,"axG",@progbits,_ZN7rocprim17ROCPRIM_400000_NS6detail17trampoline_kernelINS0_14default_configENS1_22reduce_config_selectorIN6thrust23THRUST_200600_302600_NS5tupleIbffNS6_9null_typeES8_S8_S8_S8_S8_S8_EEEEZNS1_11reduce_implILb1ES3_NS6_11hip_rocprim26transform_input_iterator_tIS9_NS6_12zip_iteratorINS7_INS6_17counting_iteratorIiNS6_11use_defaultESG_SG_EENS6_6detail15normal_iteratorINS6_10device_ptrIfEEEES8_S8_S8_S8_S8_S8_S8_S8_EEEE15transform_tupleIifEEEPS9_S9_12reduce_tupleIifEEE10hipError_tPvRmT1_T2_T3_mT4_P12ihipStream_tbEUlT_E1_NS1_11comp_targetILNS1_3genE10ELNS1_11target_archE1201ELNS1_3gpuE5ELNS1_3repE0EEENS1_30default_config_static_selectorELNS0_4arch9wavefront6targetE0EEEvSY_,comdat
.Lfunc_end33:
	.size	_ZN7rocprim17ROCPRIM_400000_NS6detail17trampoline_kernelINS0_14default_configENS1_22reduce_config_selectorIN6thrust23THRUST_200600_302600_NS5tupleIbffNS6_9null_typeES8_S8_S8_S8_S8_S8_EEEEZNS1_11reduce_implILb1ES3_NS6_11hip_rocprim26transform_input_iterator_tIS9_NS6_12zip_iteratorINS7_INS6_17counting_iteratorIiNS6_11use_defaultESG_SG_EENS6_6detail15normal_iteratorINS6_10device_ptrIfEEEES8_S8_S8_S8_S8_S8_S8_S8_EEEE15transform_tupleIifEEEPS9_S9_12reduce_tupleIifEEE10hipError_tPvRmT1_T2_T3_mT4_P12ihipStream_tbEUlT_E1_NS1_11comp_targetILNS1_3genE10ELNS1_11target_archE1201ELNS1_3gpuE5ELNS1_3repE0EEENS1_30default_config_static_selectorELNS0_4arch9wavefront6targetE0EEEvSY_, .Lfunc_end33-_ZN7rocprim17ROCPRIM_400000_NS6detail17trampoline_kernelINS0_14default_configENS1_22reduce_config_selectorIN6thrust23THRUST_200600_302600_NS5tupleIbffNS6_9null_typeES8_S8_S8_S8_S8_S8_EEEEZNS1_11reduce_implILb1ES3_NS6_11hip_rocprim26transform_input_iterator_tIS9_NS6_12zip_iteratorINS7_INS6_17counting_iteratorIiNS6_11use_defaultESG_SG_EENS6_6detail15normal_iteratorINS6_10device_ptrIfEEEES8_S8_S8_S8_S8_S8_S8_S8_EEEE15transform_tupleIifEEEPS9_S9_12reduce_tupleIifEEE10hipError_tPvRmT1_T2_T3_mT4_P12ihipStream_tbEUlT_E1_NS1_11comp_targetILNS1_3genE10ELNS1_11target_archE1201ELNS1_3gpuE5ELNS1_3repE0EEENS1_30default_config_static_selectorELNS0_4arch9wavefront6targetE0EEEvSY_
                                        ; -- End function
	.set _ZN7rocprim17ROCPRIM_400000_NS6detail17trampoline_kernelINS0_14default_configENS1_22reduce_config_selectorIN6thrust23THRUST_200600_302600_NS5tupleIbffNS6_9null_typeES8_S8_S8_S8_S8_S8_EEEEZNS1_11reduce_implILb1ES3_NS6_11hip_rocprim26transform_input_iterator_tIS9_NS6_12zip_iteratorINS7_INS6_17counting_iteratorIiNS6_11use_defaultESG_SG_EENS6_6detail15normal_iteratorINS6_10device_ptrIfEEEES8_S8_S8_S8_S8_S8_S8_S8_EEEE15transform_tupleIifEEEPS9_S9_12reduce_tupleIifEEE10hipError_tPvRmT1_T2_T3_mT4_P12ihipStream_tbEUlT_E1_NS1_11comp_targetILNS1_3genE10ELNS1_11target_archE1201ELNS1_3gpuE5ELNS1_3repE0EEENS1_30default_config_static_selectorELNS0_4arch9wavefront6targetE0EEEvSY_.num_vgpr, 0
	.set _ZN7rocprim17ROCPRIM_400000_NS6detail17trampoline_kernelINS0_14default_configENS1_22reduce_config_selectorIN6thrust23THRUST_200600_302600_NS5tupleIbffNS6_9null_typeES8_S8_S8_S8_S8_S8_EEEEZNS1_11reduce_implILb1ES3_NS6_11hip_rocprim26transform_input_iterator_tIS9_NS6_12zip_iteratorINS7_INS6_17counting_iteratorIiNS6_11use_defaultESG_SG_EENS6_6detail15normal_iteratorINS6_10device_ptrIfEEEES8_S8_S8_S8_S8_S8_S8_S8_EEEE15transform_tupleIifEEEPS9_S9_12reduce_tupleIifEEE10hipError_tPvRmT1_T2_T3_mT4_P12ihipStream_tbEUlT_E1_NS1_11comp_targetILNS1_3genE10ELNS1_11target_archE1201ELNS1_3gpuE5ELNS1_3repE0EEENS1_30default_config_static_selectorELNS0_4arch9wavefront6targetE0EEEvSY_.num_agpr, 0
	.set _ZN7rocprim17ROCPRIM_400000_NS6detail17trampoline_kernelINS0_14default_configENS1_22reduce_config_selectorIN6thrust23THRUST_200600_302600_NS5tupleIbffNS6_9null_typeES8_S8_S8_S8_S8_S8_EEEEZNS1_11reduce_implILb1ES3_NS6_11hip_rocprim26transform_input_iterator_tIS9_NS6_12zip_iteratorINS7_INS6_17counting_iteratorIiNS6_11use_defaultESG_SG_EENS6_6detail15normal_iteratorINS6_10device_ptrIfEEEES8_S8_S8_S8_S8_S8_S8_S8_EEEE15transform_tupleIifEEEPS9_S9_12reduce_tupleIifEEE10hipError_tPvRmT1_T2_T3_mT4_P12ihipStream_tbEUlT_E1_NS1_11comp_targetILNS1_3genE10ELNS1_11target_archE1201ELNS1_3gpuE5ELNS1_3repE0EEENS1_30default_config_static_selectorELNS0_4arch9wavefront6targetE0EEEvSY_.numbered_sgpr, 0
	.set _ZN7rocprim17ROCPRIM_400000_NS6detail17trampoline_kernelINS0_14default_configENS1_22reduce_config_selectorIN6thrust23THRUST_200600_302600_NS5tupleIbffNS6_9null_typeES8_S8_S8_S8_S8_S8_EEEEZNS1_11reduce_implILb1ES3_NS6_11hip_rocprim26transform_input_iterator_tIS9_NS6_12zip_iteratorINS7_INS6_17counting_iteratorIiNS6_11use_defaultESG_SG_EENS6_6detail15normal_iteratorINS6_10device_ptrIfEEEES8_S8_S8_S8_S8_S8_S8_S8_EEEE15transform_tupleIifEEEPS9_S9_12reduce_tupleIifEEE10hipError_tPvRmT1_T2_T3_mT4_P12ihipStream_tbEUlT_E1_NS1_11comp_targetILNS1_3genE10ELNS1_11target_archE1201ELNS1_3gpuE5ELNS1_3repE0EEENS1_30default_config_static_selectorELNS0_4arch9wavefront6targetE0EEEvSY_.num_named_barrier, 0
	.set _ZN7rocprim17ROCPRIM_400000_NS6detail17trampoline_kernelINS0_14default_configENS1_22reduce_config_selectorIN6thrust23THRUST_200600_302600_NS5tupleIbffNS6_9null_typeES8_S8_S8_S8_S8_S8_EEEEZNS1_11reduce_implILb1ES3_NS6_11hip_rocprim26transform_input_iterator_tIS9_NS6_12zip_iteratorINS7_INS6_17counting_iteratorIiNS6_11use_defaultESG_SG_EENS6_6detail15normal_iteratorINS6_10device_ptrIfEEEES8_S8_S8_S8_S8_S8_S8_S8_EEEE15transform_tupleIifEEEPS9_S9_12reduce_tupleIifEEE10hipError_tPvRmT1_T2_T3_mT4_P12ihipStream_tbEUlT_E1_NS1_11comp_targetILNS1_3genE10ELNS1_11target_archE1201ELNS1_3gpuE5ELNS1_3repE0EEENS1_30default_config_static_selectorELNS0_4arch9wavefront6targetE0EEEvSY_.private_seg_size, 0
	.set _ZN7rocprim17ROCPRIM_400000_NS6detail17trampoline_kernelINS0_14default_configENS1_22reduce_config_selectorIN6thrust23THRUST_200600_302600_NS5tupleIbffNS6_9null_typeES8_S8_S8_S8_S8_S8_EEEEZNS1_11reduce_implILb1ES3_NS6_11hip_rocprim26transform_input_iterator_tIS9_NS6_12zip_iteratorINS7_INS6_17counting_iteratorIiNS6_11use_defaultESG_SG_EENS6_6detail15normal_iteratorINS6_10device_ptrIfEEEES8_S8_S8_S8_S8_S8_S8_S8_EEEE15transform_tupleIifEEEPS9_S9_12reduce_tupleIifEEE10hipError_tPvRmT1_T2_T3_mT4_P12ihipStream_tbEUlT_E1_NS1_11comp_targetILNS1_3genE10ELNS1_11target_archE1201ELNS1_3gpuE5ELNS1_3repE0EEENS1_30default_config_static_selectorELNS0_4arch9wavefront6targetE0EEEvSY_.uses_vcc, 0
	.set _ZN7rocprim17ROCPRIM_400000_NS6detail17trampoline_kernelINS0_14default_configENS1_22reduce_config_selectorIN6thrust23THRUST_200600_302600_NS5tupleIbffNS6_9null_typeES8_S8_S8_S8_S8_S8_EEEEZNS1_11reduce_implILb1ES3_NS6_11hip_rocprim26transform_input_iterator_tIS9_NS6_12zip_iteratorINS7_INS6_17counting_iteratorIiNS6_11use_defaultESG_SG_EENS6_6detail15normal_iteratorINS6_10device_ptrIfEEEES8_S8_S8_S8_S8_S8_S8_S8_EEEE15transform_tupleIifEEEPS9_S9_12reduce_tupleIifEEE10hipError_tPvRmT1_T2_T3_mT4_P12ihipStream_tbEUlT_E1_NS1_11comp_targetILNS1_3genE10ELNS1_11target_archE1201ELNS1_3gpuE5ELNS1_3repE0EEENS1_30default_config_static_selectorELNS0_4arch9wavefront6targetE0EEEvSY_.uses_flat_scratch, 0
	.set _ZN7rocprim17ROCPRIM_400000_NS6detail17trampoline_kernelINS0_14default_configENS1_22reduce_config_selectorIN6thrust23THRUST_200600_302600_NS5tupleIbffNS6_9null_typeES8_S8_S8_S8_S8_S8_EEEEZNS1_11reduce_implILb1ES3_NS6_11hip_rocprim26transform_input_iterator_tIS9_NS6_12zip_iteratorINS7_INS6_17counting_iteratorIiNS6_11use_defaultESG_SG_EENS6_6detail15normal_iteratorINS6_10device_ptrIfEEEES8_S8_S8_S8_S8_S8_S8_S8_EEEE15transform_tupleIifEEEPS9_S9_12reduce_tupleIifEEE10hipError_tPvRmT1_T2_T3_mT4_P12ihipStream_tbEUlT_E1_NS1_11comp_targetILNS1_3genE10ELNS1_11target_archE1201ELNS1_3gpuE5ELNS1_3repE0EEENS1_30default_config_static_selectorELNS0_4arch9wavefront6targetE0EEEvSY_.has_dyn_sized_stack, 0
	.set _ZN7rocprim17ROCPRIM_400000_NS6detail17trampoline_kernelINS0_14default_configENS1_22reduce_config_selectorIN6thrust23THRUST_200600_302600_NS5tupleIbffNS6_9null_typeES8_S8_S8_S8_S8_S8_EEEEZNS1_11reduce_implILb1ES3_NS6_11hip_rocprim26transform_input_iterator_tIS9_NS6_12zip_iteratorINS7_INS6_17counting_iteratorIiNS6_11use_defaultESG_SG_EENS6_6detail15normal_iteratorINS6_10device_ptrIfEEEES8_S8_S8_S8_S8_S8_S8_S8_EEEE15transform_tupleIifEEEPS9_S9_12reduce_tupleIifEEE10hipError_tPvRmT1_T2_T3_mT4_P12ihipStream_tbEUlT_E1_NS1_11comp_targetILNS1_3genE10ELNS1_11target_archE1201ELNS1_3gpuE5ELNS1_3repE0EEENS1_30default_config_static_selectorELNS0_4arch9wavefront6targetE0EEEvSY_.has_recursion, 0
	.set _ZN7rocprim17ROCPRIM_400000_NS6detail17trampoline_kernelINS0_14default_configENS1_22reduce_config_selectorIN6thrust23THRUST_200600_302600_NS5tupleIbffNS6_9null_typeES8_S8_S8_S8_S8_S8_EEEEZNS1_11reduce_implILb1ES3_NS6_11hip_rocprim26transform_input_iterator_tIS9_NS6_12zip_iteratorINS7_INS6_17counting_iteratorIiNS6_11use_defaultESG_SG_EENS6_6detail15normal_iteratorINS6_10device_ptrIfEEEES8_S8_S8_S8_S8_S8_S8_S8_EEEE15transform_tupleIifEEEPS9_S9_12reduce_tupleIifEEE10hipError_tPvRmT1_T2_T3_mT4_P12ihipStream_tbEUlT_E1_NS1_11comp_targetILNS1_3genE10ELNS1_11target_archE1201ELNS1_3gpuE5ELNS1_3repE0EEENS1_30default_config_static_selectorELNS0_4arch9wavefront6targetE0EEEvSY_.has_indirect_call, 0
	.section	.AMDGPU.csdata,"",@progbits
; Kernel info:
; codeLenInByte = 0
; TotalNumSgprs: 0
; NumVgprs: 0
; ScratchSize: 0
; MemoryBound: 0
; FloatMode: 240
; IeeeMode: 1
; LDSByteSize: 0 bytes/workgroup (compile time only)
; SGPRBlocks: 0
; VGPRBlocks: 0
; NumSGPRsForWavesPerEU: 1
; NumVGPRsForWavesPerEU: 1
; NamedBarCnt: 0
; Occupancy: 16
; WaveLimiterHint : 0
; COMPUTE_PGM_RSRC2:SCRATCH_EN: 0
; COMPUTE_PGM_RSRC2:USER_SGPR: 2
; COMPUTE_PGM_RSRC2:TRAP_HANDLER: 0
; COMPUTE_PGM_RSRC2:TGID_X_EN: 1
; COMPUTE_PGM_RSRC2:TGID_Y_EN: 0
; COMPUTE_PGM_RSRC2:TGID_Z_EN: 0
; COMPUTE_PGM_RSRC2:TIDIG_COMP_CNT: 0
	.section	.text._ZN7rocprim17ROCPRIM_400000_NS6detail17trampoline_kernelINS0_14default_configENS1_22reduce_config_selectorIN6thrust23THRUST_200600_302600_NS5tupleIbffNS6_9null_typeES8_S8_S8_S8_S8_S8_EEEEZNS1_11reduce_implILb1ES3_NS6_11hip_rocprim26transform_input_iterator_tIS9_NS6_12zip_iteratorINS7_INS6_17counting_iteratorIiNS6_11use_defaultESG_SG_EENS6_6detail15normal_iteratorINS6_10device_ptrIfEEEES8_S8_S8_S8_S8_S8_S8_S8_EEEE15transform_tupleIifEEEPS9_S9_12reduce_tupleIifEEE10hipError_tPvRmT1_T2_T3_mT4_P12ihipStream_tbEUlT_E1_NS1_11comp_targetILNS1_3genE10ELNS1_11target_archE1200ELNS1_3gpuE4ELNS1_3repE0EEENS1_30default_config_static_selectorELNS0_4arch9wavefront6targetE0EEEvSY_,"axG",@progbits,_ZN7rocprim17ROCPRIM_400000_NS6detail17trampoline_kernelINS0_14default_configENS1_22reduce_config_selectorIN6thrust23THRUST_200600_302600_NS5tupleIbffNS6_9null_typeES8_S8_S8_S8_S8_S8_EEEEZNS1_11reduce_implILb1ES3_NS6_11hip_rocprim26transform_input_iterator_tIS9_NS6_12zip_iteratorINS7_INS6_17counting_iteratorIiNS6_11use_defaultESG_SG_EENS6_6detail15normal_iteratorINS6_10device_ptrIfEEEES8_S8_S8_S8_S8_S8_S8_S8_EEEE15transform_tupleIifEEEPS9_S9_12reduce_tupleIifEEE10hipError_tPvRmT1_T2_T3_mT4_P12ihipStream_tbEUlT_E1_NS1_11comp_targetILNS1_3genE10ELNS1_11target_archE1200ELNS1_3gpuE4ELNS1_3repE0EEENS1_30default_config_static_selectorELNS0_4arch9wavefront6targetE0EEEvSY_,comdat
	.protected	_ZN7rocprim17ROCPRIM_400000_NS6detail17trampoline_kernelINS0_14default_configENS1_22reduce_config_selectorIN6thrust23THRUST_200600_302600_NS5tupleIbffNS6_9null_typeES8_S8_S8_S8_S8_S8_EEEEZNS1_11reduce_implILb1ES3_NS6_11hip_rocprim26transform_input_iterator_tIS9_NS6_12zip_iteratorINS7_INS6_17counting_iteratorIiNS6_11use_defaultESG_SG_EENS6_6detail15normal_iteratorINS6_10device_ptrIfEEEES8_S8_S8_S8_S8_S8_S8_S8_EEEE15transform_tupleIifEEEPS9_S9_12reduce_tupleIifEEE10hipError_tPvRmT1_T2_T3_mT4_P12ihipStream_tbEUlT_E1_NS1_11comp_targetILNS1_3genE10ELNS1_11target_archE1200ELNS1_3gpuE4ELNS1_3repE0EEENS1_30default_config_static_selectorELNS0_4arch9wavefront6targetE0EEEvSY_ ; -- Begin function _ZN7rocprim17ROCPRIM_400000_NS6detail17trampoline_kernelINS0_14default_configENS1_22reduce_config_selectorIN6thrust23THRUST_200600_302600_NS5tupleIbffNS6_9null_typeES8_S8_S8_S8_S8_S8_EEEEZNS1_11reduce_implILb1ES3_NS6_11hip_rocprim26transform_input_iterator_tIS9_NS6_12zip_iteratorINS7_INS6_17counting_iteratorIiNS6_11use_defaultESG_SG_EENS6_6detail15normal_iteratorINS6_10device_ptrIfEEEES8_S8_S8_S8_S8_S8_S8_S8_EEEE15transform_tupleIifEEEPS9_S9_12reduce_tupleIifEEE10hipError_tPvRmT1_T2_T3_mT4_P12ihipStream_tbEUlT_E1_NS1_11comp_targetILNS1_3genE10ELNS1_11target_archE1200ELNS1_3gpuE4ELNS1_3repE0EEENS1_30default_config_static_selectorELNS0_4arch9wavefront6targetE0EEEvSY_
	.globl	_ZN7rocprim17ROCPRIM_400000_NS6detail17trampoline_kernelINS0_14default_configENS1_22reduce_config_selectorIN6thrust23THRUST_200600_302600_NS5tupleIbffNS6_9null_typeES8_S8_S8_S8_S8_S8_EEEEZNS1_11reduce_implILb1ES3_NS6_11hip_rocprim26transform_input_iterator_tIS9_NS6_12zip_iteratorINS7_INS6_17counting_iteratorIiNS6_11use_defaultESG_SG_EENS6_6detail15normal_iteratorINS6_10device_ptrIfEEEES8_S8_S8_S8_S8_S8_S8_S8_EEEE15transform_tupleIifEEEPS9_S9_12reduce_tupleIifEEE10hipError_tPvRmT1_T2_T3_mT4_P12ihipStream_tbEUlT_E1_NS1_11comp_targetILNS1_3genE10ELNS1_11target_archE1200ELNS1_3gpuE4ELNS1_3repE0EEENS1_30default_config_static_selectorELNS0_4arch9wavefront6targetE0EEEvSY_
	.p2align	8
	.type	_ZN7rocprim17ROCPRIM_400000_NS6detail17trampoline_kernelINS0_14default_configENS1_22reduce_config_selectorIN6thrust23THRUST_200600_302600_NS5tupleIbffNS6_9null_typeES8_S8_S8_S8_S8_S8_EEEEZNS1_11reduce_implILb1ES3_NS6_11hip_rocprim26transform_input_iterator_tIS9_NS6_12zip_iteratorINS7_INS6_17counting_iteratorIiNS6_11use_defaultESG_SG_EENS6_6detail15normal_iteratorINS6_10device_ptrIfEEEES8_S8_S8_S8_S8_S8_S8_S8_EEEE15transform_tupleIifEEEPS9_S9_12reduce_tupleIifEEE10hipError_tPvRmT1_T2_T3_mT4_P12ihipStream_tbEUlT_E1_NS1_11comp_targetILNS1_3genE10ELNS1_11target_archE1200ELNS1_3gpuE4ELNS1_3repE0EEENS1_30default_config_static_selectorELNS0_4arch9wavefront6targetE0EEEvSY_,@function
_ZN7rocprim17ROCPRIM_400000_NS6detail17trampoline_kernelINS0_14default_configENS1_22reduce_config_selectorIN6thrust23THRUST_200600_302600_NS5tupleIbffNS6_9null_typeES8_S8_S8_S8_S8_S8_EEEEZNS1_11reduce_implILb1ES3_NS6_11hip_rocprim26transform_input_iterator_tIS9_NS6_12zip_iteratorINS7_INS6_17counting_iteratorIiNS6_11use_defaultESG_SG_EENS6_6detail15normal_iteratorINS6_10device_ptrIfEEEES8_S8_S8_S8_S8_S8_S8_S8_EEEE15transform_tupleIifEEEPS9_S9_12reduce_tupleIifEEE10hipError_tPvRmT1_T2_T3_mT4_P12ihipStream_tbEUlT_E1_NS1_11comp_targetILNS1_3genE10ELNS1_11target_archE1200ELNS1_3gpuE4ELNS1_3repE0EEENS1_30default_config_static_selectorELNS0_4arch9wavefront6targetE0EEEvSY_: ; @_ZN7rocprim17ROCPRIM_400000_NS6detail17trampoline_kernelINS0_14default_configENS1_22reduce_config_selectorIN6thrust23THRUST_200600_302600_NS5tupleIbffNS6_9null_typeES8_S8_S8_S8_S8_S8_EEEEZNS1_11reduce_implILb1ES3_NS6_11hip_rocprim26transform_input_iterator_tIS9_NS6_12zip_iteratorINS7_INS6_17counting_iteratorIiNS6_11use_defaultESG_SG_EENS6_6detail15normal_iteratorINS6_10device_ptrIfEEEES8_S8_S8_S8_S8_S8_S8_S8_EEEE15transform_tupleIifEEEPS9_S9_12reduce_tupleIifEEE10hipError_tPvRmT1_T2_T3_mT4_P12ihipStream_tbEUlT_E1_NS1_11comp_targetILNS1_3genE10ELNS1_11target_archE1200ELNS1_3gpuE4ELNS1_3repE0EEENS1_30default_config_static_selectorELNS0_4arch9wavefront6targetE0EEEvSY_
; %bb.0:
	.section	.rodata,"a",@progbits
	.p2align	6, 0x0
	.amdhsa_kernel _ZN7rocprim17ROCPRIM_400000_NS6detail17trampoline_kernelINS0_14default_configENS1_22reduce_config_selectorIN6thrust23THRUST_200600_302600_NS5tupleIbffNS6_9null_typeES8_S8_S8_S8_S8_S8_EEEEZNS1_11reduce_implILb1ES3_NS6_11hip_rocprim26transform_input_iterator_tIS9_NS6_12zip_iteratorINS7_INS6_17counting_iteratorIiNS6_11use_defaultESG_SG_EENS6_6detail15normal_iteratorINS6_10device_ptrIfEEEES8_S8_S8_S8_S8_S8_S8_S8_EEEE15transform_tupleIifEEEPS9_S9_12reduce_tupleIifEEE10hipError_tPvRmT1_T2_T3_mT4_P12ihipStream_tbEUlT_E1_NS1_11comp_targetILNS1_3genE10ELNS1_11target_archE1200ELNS1_3gpuE4ELNS1_3repE0EEENS1_30default_config_static_selectorELNS0_4arch9wavefront6targetE0EEEvSY_
		.amdhsa_group_segment_fixed_size 0
		.amdhsa_private_segment_fixed_size 0
		.amdhsa_kernarg_size 64
		.amdhsa_user_sgpr_count 2
		.amdhsa_user_sgpr_dispatch_ptr 0
		.amdhsa_user_sgpr_queue_ptr 0
		.amdhsa_user_sgpr_kernarg_segment_ptr 1
		.amdhsa_user_sgpr_dispatch_id 0
		.amdhsa_user_sgpr_kernarg_preload_length 0
		.amdhsa_user_sgpr_kernarg_preload_offset 0
		.amdhsa_user_sgpr_private_segment_size 0
		.amdhsa_wavefront_size32 1
		.amdhsa_uses_dynamic_stack 0
		.amdhsa_enable_private_segment 0
		.amdhsa_system_sgpr_workgroup_id_x 1
		.amdhsa_system_sgpr_workgroup_id_y 0
		.amdhsa_system_sgpr_workgroup_id_z 0
		.amdhsa_system_sgpr_workgroup_info 0
		.amdhsa_system_vgpr_workitem_id 0
		.amdhsa_next_free_vgpr 1
		.amdhsa_next_free_sgpr 1
		.amdhsa_named_barrier_count 0
		.amdhsa_reserve_vcc 0
		.amdhsa_float_round_mode_32 0
		.amdhsa_float_round_mode_16_64 0
		.amdhsa_float_denorm_mode_32 3
		.amdhsa_float_denorm_mode_16_64 3
		.amdhsa_fp16_overflow 0
		.amdhsa_memory_ordered 1
		.amdhsa_forward_progress 1
		.amdhsa_inst_pref_size 0
		.amdhsa_round_robin_scheduling 0
		.amdhsa_exception_fp_ieee_invalid_op 0
		.amdhsa_exception_fp_denorm_src 0
		.amdhsa_exception_fp_ieee_div_zero 0
		.amdhsa_exception_fp_ieee_overflow 0
		.amdhsa_exception_fp_ieee_underflow 0
		.amdhsa_exception_fp_ieee_inexact 0
		.amdhsa_exception_int_div_zero 0
	.end_amdhsa_kernel
	.section	.text._ZN7rocprim17ROCPRIM_400000_NS6detail17trampoline_kernelINS0_14default_configENS1_22reduce_config_selectorIN6thrust23THRUST_200600_302600_NS5tupleIbffNS6_9null_typeES8_S8_S8_S8_S8_S8_EEEEZNS1_11reduce_implILb1ES3_NS6_11hip_rocprim26transform_input_iterator_tIS9_NS6_12zip_iteratorINS7_INS6_17counting_iteratorIiNS6_11use_defaultESG_SG_EENS6_6detail15normal_iteratorINS6_10device_ptrIfEEEES8_S8_S8_S8_S8_S8_S8_S8_EEEE15transform_tupleIifEEEPS9_S9_12reduce_tupleIifEEE10hipError_tPvRmT1_T2_T3_mT4_P12ihipStream_tbEUlT_E1_NS1_11comp_targetILNS1_3genE10ELNS1_11target_archE1200ELNS1_3gpuE4ELNS1_3repE0EEENS1_30default_config_static_selectorELNS0_4arch9wavefront6targetE0EEEvSY_,"axG",@progbits,_ZN7rocprim17ROCPRIM_400000_NS6detail17trampoline_kernelINS0_14default_configENS1_22reduce_config_selectorIN6thrust23THRUST_200600_302600_NS5tupleIbffNS6_9null_typeES8_S8_S8_S8_S8_S8_EEEEZNS1_11reduce_implILb1ES3_NS6_11hip_rocprim26transform_input_iterator_tIS9_NS6_12zip_iteratorINS7_INS6_17counting_iteratorIiNS6_11use_defaultESG_SG_EENS6_6detail15normal_iteratorINS6_10device_ptrIfEEEES8_S8_S8_S8_S8_S8_S8_S8_EEEE15transform_tupleIifEEEPS9_S9_12reduce_tupleIifEEE10hipError_tPvRmT1_T2_T3_mT4_P12ihipStream_tbEUlT_E1_NS1_11comp_targetILNS1_3genE10ELNS1_11target_archE1200ELNS1_3gpuE4ELNS1_3repE0EEENS1_30default_config_static_selectorELNS0_4arch9wavefront6targetE0EEEvSY_,comdat
.Lfunc_end34:
	.size	_ZN7rocprim17ROCPRIM_400000_NS6detail17trampoline_kernelINS0_14default_configENS1_22reduce_config_selectorIN6thrust23THRUST_200600_302600_NS5tupleIbffNS6_9null_typeES8_S8_S8_S8_S8_S8_EEEEZNS1_11reduce_implILb1ES3_NS6_11hip_rocprim26transform_input_iterator_tIS9_NS6_12zip_iteratorINS7_INS6_17counting_iteratorIiNS6_11use_defaultESG_SG_EENS6_6detail15normal_iteratorINS6_10device_ptrIfEEEES8_S8_S8_S8_S8_S8_S8_S8_EEEE15transform_tupleIifEEEPS9_S9_12reduce_tupleIifEEE10hipError_tPvRmT1_T2_T3_mT4_P12ihipStream_tbEUlT_E1_NS1_11comp_targetILNS1_3genE10ELNS1_11target_archE1200ELNS1_3gpuE4ELNS1_3repE0EEENS1_30default_config_static_selectorELNS0_4arch9wavefront6targetE0EEEvSY_, .Lfunc_end34-_ZN7rocprim17ROCPRIM_400000_NS6detail17trampoline_kernelINS0_14default_configENS1_22reduce_config_selectorIN6thrust23THRUST_200600_302600_NS5tupleIbffNS6_9null_typeES8_S8_S8_S8_S8_S8_EEEEZNS1_11reduce_implILb1ES3_NS6_11hip_rocprim26transform_input_iterator_tIS9_NS6_12zip_iteratorINS7_INS6_17counting_iteratorIiNS6_11use_defaultESG_SG_EENS6_6detail15normal_iteratorINS6_10device_ptrIfEEEES8_S8_S8_S8_S8_S8_S8_S8_EEEE15transform_tupleIifEEEPS9_S9_12reduce_tupleIifEEE10hipError_tPvRmT1_T2_T3_mT4_P12ihipStream_tbEUlT_E1_NS1_11comp_targetILNS1_3genE10ELNS1_11target_archE1200ELNS1_3gpuE4ELNS1_3repE0EEENS1_30default_config_static_selectorELNS0_4arch9wavefront6targetE0EEEvSY_
                                        ; -- End function
	.set _ZN7rocprim17ROCPRIM_400000_NS6detail17trampoline_kernelINS0_14default_configENS1_22reduce_config_selectorIN6thrust23THRUST_200600_302600_NS5tupleIbffNS6_9null_typeES8_S8_S8_S8_S8_S8_EEEEZNS1_11reduce_implILb1ES3_NS6_11hip_rocprim26transform_input_iterator_tIS9_NS6_12zip_iteratorINS7_INS6_17counting_iteratorIiNS6_11use_defaultESG_SG_EENS6_6detail15normal_iteratorINS6_10device_ptrIfEEEES8_S8_S8_S8_S8_S8_S8_S8_EEEE15transform_tupleIifEEEPS9_S9_12reduce_tupleIifEEE10hipError_tPvRmT1_T2_T3_mT4_P12ihipStream_tbEUlT_E1_NS1_11comp_targetILNS1_3genE10ELNS1_11target_archE1200ELNS1_3gpuE4ELNS1_3repE0EEENS1_30default_config_static_selectorELNS0_4arch9wavefront6targetE0EEEvSY_.num_vgpr, 0
	.set _ZN7rocprim17ROCPRIM_400000_NS6detail17trampoline_kernelINS0_14default_configENS1_22reduce_config_selectorIN6thrust23THRUST_200600_302600_NS5tupleIbffNS6_9null_typeES8_S8_S8_S8_S8_S8_EEEEZNS1_11reduce_implILb1ES3_NS6_11hip_rocprim26transform_input_iterator_tIS9_NS6_12zip_iteratorINS7_INS6_17counting_iteratorIiNS6_11use_defaultESG_SG_EENS6_6detail15normal_iteratorINS6_10device_ptrIfEEEES8_S8_S8_S8_S8_S8_S8_S8_EEEE15transform_tupleIifEEEPS9_S9_12reduce_tupleIifEEE10hipError_tPvRmT1_T2_T3_mT4_P12ihipStream_tbEUlT_E1_NS1_11comp_targetILNS1_3genE10ELNS1_11target_archE1200ELNS1_3gpuE4ELNS1_3repE0EEENS1_30default_config_static_selectorELNS0_4arch9wavefront6targetE0EEEvSY_.num_agpr, 0
	.set _ZN7rocprim17ROCPRIM_400000_NS6detail17trampoline_kernelINS0_14default_configENS1_22reduce_config_selectorIN6thrust23THRUST_200600_302600_NS5tupleIbffNS6_9null_typeES8_S8_S8_S8_S8_S8_EEEEZNS1_11reduce_implILb1ES3_NS6_11hip_rocprim26transform_input_iterator_tIS9_NS6_12zip_iteratorINS7_INS6_17counting_iteratorIiNS6_11use_defaultESG_SG_EENS6_6detail15normal_iteratorINS6_10device_ptrIfEEEES8_S8_S8_S8_S8_S8_S8_S8_EEEE15transform_tupleIifEEEPS9_S9_12reduce_tupleIifEEE10hipError_tPvRmT1_T2_T3_mT4_P12ihipStream_tbEUlT_E1_NS1_11comp_targetILNS1_3genE10ELNS1_11target_archE1200ELNS1_3gpuE4ELNS1_3repE0EEENS1_30default_config_static_selectorELNS0_4arch9wavefront6targetE0EEEvSY_.numbered_sgpr, 0
	.set _ZN7rocprim17ROCPRIM_400000_NS6detail17trampoline_kernelINS0_14default_configENS1_22reduce_config_selectorIN6thrust23THRUST_200600_302600_NS5tupleIbffNS6_9null_typeES8_S8_S8_S8_S8_S8_EEEEZNS1_11reduce_implILb1ES3_NS6_11hip_rocprim26transform_input_iterator_tIS9_NS6_12zip_iteratorINS7_INS6_17counting_iteratorIiNS6_11use_defaultESG_SG_EENS6_6detail15normal_iteratorINS6_10device_ptrIfEEEES8_S8_S8_S8_S8_S8_S8_S8_EEEE15transform_tupleIifEEEPS9_S9_12reduce_tupleIifEEE10hipError_tPvRmT1_T2_T3_mT4_P12ihipStream_tbEUlT_E1_NS1_11comp_targetILNS1_3genE10ELNS1_11target_archE1200ELNS1_3gpuE4ELNS1_3repE0EEENS1_30default_config_static_selectorELNS0_4arch9wavefront6targetE0EEEvSY_.num_named_barrier, 0
	.set _ZN7rocprim17ROCPRIM_400000_NS6detail17trampoline_kernelINS0_14default_configENS1_22reduce_config_selectorIN6thrust23THRUST_200600_302600_NS5tupleIbffNS6_9null_typeES8_S8_S8_S8_S8_S8_EEEEZNS1_11reduce_implILb1ES3_NS6_11hip_rocprim26transform_input_iterator_tIS9_NS6_12zip_iteratorINS7_INS6_17counting_iteratorIiNS6_11use_defaultESG_SG_EENS6_6detail15normal_iteratorINS6_10device_ptrIfEEEES8_S8_S8_S8_S8_S8_S8_S8_EEEE15transform_tupleIifEEEPS9_S9_12reduce_tupleIifEEE10hipError_tPvRmT1_T2_T3_mT4_P12ihipStream_tbEUlT_E1_NS1_11comp_targetILNS1_3genE10ELNS1_11target_archE1200ELNS1_3gpuE4ELNS1_3repE0EEENS1_30default_config_static_selectorELNS0_4arch9wavefront6targetE0EEEvSY_.private_seg_size, 0
	.set _ZN7rocprim17ROCPRIM_400000_NS6detail17trampoline_kernelINS0_14default_configENS1_22reduce_config_selectorIN6thrust23THRUST_200600_302600_NS5tupleIbffNS6_9null_typeES8_S8_S8_S8_S8_S8_EEEEZNS1_11reduce_implILb1ES3_NS6_11hip_rocprim26transform_input_iterator_tIS9_NS6_12zip_iteratorINS7_INS6_17counting_iteratorIiNS6_11use_defaultESG_SG_EENS6_6detail15normal_iteratorINS6_10device_ptrIfEEEES8_S8_S8_S8_S8_S8_S8_S8_EEEE15transform_tupleIifEEEPS9_S9_12reduce_tupleIifEEE10hipError_tPvRmT1_T2_T3_mT4_P12ihipStream_tbEUlT_E1_NS1_11comp_targetILNS1_3genE10ELNS1_11target_archE1200ELNS1_3gpuE4ELNS1_3repE0EEENS1_30default_config_static_selectorELNS0_4arch9wavefront6targetE0EEEvSY_.uses_vcc, 0
	.set _ZN7rocprim17ROCPRIM_400000_NS6detail17trampoline_kernelINS0_14default_configENS1_22reduce_config_selectorIN6thrust23THRUST_200600_302600_NS5tupleIbffNS6_9null_typeES8_S8_S8_S8_S8_S8_EEEEZNS1_11reduce_implILb1ES3_NS6_11hip_rocprim26transform_input_iterator_tIS9_NS6_12zip_iteratorINS7_INS6_17counting_iteratorIiNS6_11use_defaultESG_SG_EENS6_6detail15normal_iteratorINS6_10device_ptrIfEEEES8_S8_S8_S8_S8_S8_S8_S8_EEEE15transform_tupleIifEEEPS9_S9_12reduce_tupleIifEEE10hipError_tPvRmT1_T2_T3_mT4_P12ihipStream_tbEUlT_E1_NS1_11comp_targetILNS1_3genE10ELNS1_11target_archE1200ELNS1_3gpuE4ELNS1_3repE0EEENS1_30default_config_static_selectorELNS0_4arch9wavefront6targetE0EEEvSY_.uses_flat_scratch, 0
	.set _ZN7rocprim17ROCPRIM_400000_NS6detail17trampoline_kernelINS0_14default_configENS1_22reduce_config_selectorIN6thrust23THRUST_200600_302600_NS5tupleIbffNS6_9null_typeES8_S8_S8_S8_S8_S8_EEEEZNS1_11reduce_implILb1ES3_NS6_11hip_rocprim26transform_input_iterator_tIS9_NS6_12zip_iteratorINS7_INS6_17counting_iteratorIiNS6_11use_defaultESG_SG_EENS6_6detail15normal_iteratorINS6_10device_ptrIfEEEES8_S8_S8_S8_S8_S8_S8_S8_EEEE15transform_tupleIifEEEPS9_S9_12reduce_tupleIifEEE10hipError_tPvRmT1_T2_T3_mT4_P12ihipStream_tbEUlT_E1_NS1_11comp_targetILNS1_3genE10ELNS1_11target_archE1200ELNS1_3gpuE4ELNS1_3repE0EEENS1_30default_config_static_selectorELNS0_4arch9wavefront6targetE0EEEvSY_.has_dyn_sized_stack, 0
	.set _ZN7rocprim17ROCPRIM_400000_NS6detail17trampoline_kernelINS0_14default_configENS1_22reduce_config_selectorIN6thrust23THRUST_200600_302600_NS5tupleIbffNS6_9null_typeES8_S8_S8_S8_S8_S8_EEEEZNS1_11reduce_implILb1ES3_NS6_11hip_rocprim26transform_input_iterator_tIS9_NS6_12zip_iteratorINS7_INS6_17counting_iteratorIiNS6_11use_defaultESG_SG_EENS6_6detail15normal_iteratorINS6_10device_ptrIfEEEES8_S8_S8_S8_S8_S8_S8_S8_EEEE15transform_tupleIifEEEPS9_S9_12reduce_tupleIifEEE10hipError_tPvRmT1_T2_T3_mT4_P12ihipStream_tbEUlT_E1_NS1_11comp_targetILNS1_3genE10ELNS1_11target_archE1200ELNS1_3gpuE4ELNS1_3repE0EEENS1_30default_config_static_selectorELNS0_4arch9wavefront6targetE0EEEvSY_.has_recursion, 0
	.set _ZN7rocprim17ROCPRIM_400000_NS6detail17trampoline_kernelINS0_14default_configENS1_22reduce_config_selectorIN6thrust23THRUST_200600_302600_NS5tupleIbffNS6_9null_typeES8_S8_S8_S8_S8_S8_EEEEZNS1_11reduce_implILb1ES3_NS6_11hip_rocprim26transform_input_iterator_tIS9_NS6_12zip_iteratorINS7_INS6_17counting_iteratorIiNS6_11use_defaultESG_SG_EENS6_6detail15normal_iteratorINS6_10device_ptrIfEEEES8_S8_S8_S8_S8_S8_S8_S8_EEEE15transform_tupleIifEEEPS9_S9_12reduce_tupleIifEEE10hipError_tPvRmT1_T2_T3_mT4_P12ihipStream_tbEUlT_E1_NS1_11comp_targetILNS1_3genE10ELNS1_11target_archE1200ELNS1_3gpuE4ELNS1_3repE0EEENS1_30default_config_static_selectorELNS0_4arch9wavefront6targetE0EEEvSY_.has_indirect_call, 0
	.section	.AMDGPU.csdata,"",@progbits
; Kernel info:
; codeLenInByte = 0
; TotalNumSgprs: 0
; NumVgprs: 0
; ScratchSize: 0
; MemoryBound: 0
; FloatMode: 240
; IeeeMode: 1
; LDSByteSize: 0 bytes/workgroup (compile time only)
; SGPRBlocks: 0
; VGPRBlocks: 0
; NumSGPRsForWavesPerEU: 1
; NumVGPRsForWavesPerEU: 1
; NamedBarCnt: 0
; Occupancy: 16
; WaveLimiterHint : 0
; COMPUTE_PGM_RSRC2:SCRATCH_EN: 0
; COMPUTE_PGM_RSRC2:USER_SGPR: 2
; COMPUTE_PGM_RSRC2:TRAP_HANDLER: 0
; COMPUTE_PGM_RSRC2:TGID_X_EN: 1
; COMPUTE_PGM_RSRC2:TGID_Y_EN: 0
; COMPUTE_PGM_RSRC2:TGID_Z_EN: 0
; COMPUTE_PGM_RSRC2:TIDIG_COMP_CNT: 0
	.section	.text._ZN7rocprim17ROCPRIM_400000_NS6detail17trampoline_kernelINS0_14default_configENS1_22reduce_config_selectorIN6thrust23THRUST_200600_302600_NS5tupleIbffNS6_9null_typeES8_S8_S8_S8_S8_S8_EEEEZNS1_11reduce_implILb1ES3_NS6_11hip_rocprim26transform_input_iterator_tIS9_NS6_12zip_iteratorINS7_INS6_17counting_iteratorIiNS6_11use_defaultESG_SG_EENS6_6detail15normal_iteratorINS6_10device_ptrIfEEEES8_S8_S8_S8_S8_S8_S8_S8_EEEE15transform_tupleIifEEEPS9_S9_12reduce_tupleIifEEE10hipError_tPvRmT1_T2_T3_mT4_P12ihipStream_tbEUlT_E1_NS1_11comp_targetILNS1_3genE9ELNS1_11target_archE1100ELNS1_3gpuE3ELNS1_3repE0EEENS1_30default_config_static_selectorELNS0_4arch9wavefront6targetE0EEEvSY_,"axG",@progbits,_ZN7rocprim17ROCPRIM_400000_NS6detail17trampoline_kernelINS0_14default_configENS1_22reduce_config_selectorIN6thrust23THRUST_200600_302600_NS5tupleIbffNS6_9null_typeES8_S8_S8_S8_S8_S8_EEEEZNS1_11reduce_implILb1ES3_NS6_11hip_rocprim26transform_input_iterator_tIS9_NS6_12zip_iteratorINS7_INS6_17counting_iteratorIiNS6_11use_defaultESG_SG_EENS6_6detail15normal_iteratorINS6_10device_ptrIfEEEES8_S8_S8_S8_S8_S8_S8_S8_EEEE15transform_tupleIifEEEPS9_S9_12reduce_tupleIifEEE10hipError_tPvRmT1_T2_T3_mT4_P12ihipStream_tbEUlT_E1_NS1_11comp_targetILNS1_3genE9ELNS1_11target_archE1100ELNS1_3gpuE3ELNS1_3repE0EEENS1_30default_config_static_selectorELNS0_4arch9wavefront6targetE0EEEvSY_,comdat
	.protected	_ZN7rocprim17ROCPRIM_400000_NS6detail17trampoline_kernelINS0_14default_configENS1_22reduce_config_selectorIN6thrust23THRUST_200600_302600_NS5tupleIbffNS6_9null_typeES8_S8_S8_S8_S8_S8_EEEEZNS1_11reduce_implILb1ES3_NS6_11hip_rocprim26transform_input_iterator_tIS9_NS6_12zip_iteratorINS7_INS6_17counting_iteratorIiNS6_11use_defaultESG_SG_EENS6_6detail15normal_iteratorINS6_10device_ptrIfEEEES8_S8_S8_S8_S8_S8_S8_S8_EEEE15transform_tupleIifEEEPS9_S9_12reduce_tupleIifEEE10hipError_tPvRmT1_T2_T3_mT4_P12ihipStream_tbEUlT_E1_NS1_11comp_targetILNS1_3genE9ELNS1_11target_archE1100ELNS1_3gpuE3ELNS1_3repE0EEENS1_30default_config_static_selectorELNS0_4arch9wavefront6targetE0EEEvSY_ ; -- Begin function _ZN7rocprim17ROCPRIM_400000_NS6detail17trampoline_kernelINS0_14default_configENS1_22reduce_config_selectorIN6thrust23THRUST_200600_302600_NS5tupleIbffNS6_9null_typeES8_S8_S8_S8_S8_S8_EEEEZNS1_11reduce_implILb1ES3_NS6_11hip_rocprim26transform_input_iterator_tIS9_NS6_12zip_iteratorINS7_INS6_17counting_iteratorIiNS6_11use_defaultESG_SG_EENS6_6detail15normal_iteratorINS6_10device_ptrIfEEEES8_S8_S8_S8_S8_S8_S8_S8_EEEE15transform_tupleIifEEEPS9_S9_12reduce_tupleIifEEE10hipError_tPvRmT1_T2_T3_mT4_P12ihipStream_tbEUlT_E1_NS1_11comp_targetILNS1_3genE9ELNS1_11target_archE1100ELNS1_3gpuE3ELNS1_3repE0EEENS1_30default_config_static_selectorELNS0_4arch9wavefront6targetE0EEEvSY_
	.globl	_ZN7rocprim17ROCPRIM_400000_NS6detail17trampoline_kernelINS0_14default_configENS1_22reduce_config_selectorIN6thrust23THRUST_200600_302600_NS5tupleIbffNS6_9null_typeES8_S8_S8_S8_S8_S8_EEEEZNS1_11reduce_implILb1ES3_NS6_11hip_rocprim26transform_input_iterator_tIS9_NS6_12zip_iteratorINS7_INS6_17counting_iteratorIiNS6_11use_defaultESG_SG_EENS6_6detail15normal_iteratorINS6_10device_ptrIfEEEES8_S8_S8_S8_S8_S8_S8_S8_EEEE15transform_tupleIifEEEPS9_S9_12reduce_tupleIifEEE10hipError_tPvRmT1_T2_T3_mT4_P12ihipStream_tbEUlT_E1_NS1_11comp_targetILNS1_3genE9ELNS1_11target_archE1100ELNS1_3gpuE3ELNS1_3repE0EEENS1_30default_config_static_selectorELNS0_4arch9wavefront6targetE0EEEvSY_
	.p2align	8
	.type	_ZN7rocprim17ROCPRIM_400000_NS6detail17trampoline_kernelINS0_14default_configENS1_22reduce_config_selectorIN6thrust23THRUST_200600_302600_NS5tupleIbffNS6_9null_typeES8_S8_S8_S8_S8_S8_EEEEZNS1_11reduce_implILb1ES3_NS6_11hip_rocprim26transform_input_iterator_tIS9_NS6_12zip_iteratorINS7_INS6_17counting_iteratorIiNS6_11use_defaultESG_SG_EENS6_6detail15normal_iteratorINS6_10device_ptrIfEEEES8_S8_S8_S8_S8_S8_S8_S8_EEEE15transform_tupleIifEEEPS9_S9_12reduce_tupleIifEEE10hipError_tPvRmT1_T2_T3_mT4_P12ihipStream_tbEUlT_E1_NS1_11comp_targetILNS1_3genE9ELNS1_11target_archE1100ELNS1_3gpuE3ELNS1_3repE0EEENS1_30default_config_static_selectorELNS0_4arch9wavefront6targetE0EEEvSY_,@function
_ZN7rocprim17ROCPRIM_400000_NS6detail17trampoline_kernelINS0_14default_configENS1_22reduce_config_selectorIN6thrust23THRUST_200600_302600_NS5tupleIbffNS6_9null_typeES8_S8_S8_S8_S8_S8_EEEEZNS1_11reduce_implILb1ES3_NS6_11hip_rocprim26transform_input_iterator_tIS9_NS6_12zip_iteratorINS7_INS6_17counting_iteratorIiNS6_11use_defaultESG_SG_EENS6_6detail15normal_iteratorINS6_10device_ptrIfEEEES8_S8_S8_S8_S8_S8_S8_S8_EEEE15transform_tupleIifEEEPS9_S9_12reduce_tupleIifEEE10hipError_tPvRmT1_T2_T3_mT4_P12ihipStream_tbEUlT_E1_NS1_11comp_targetILNS1_3genE9ELNS1_11target_archE1100ELNS1_3gpuE3ELNS1_3repE0EEENS1_30default_config_static_selectorELNS0_4arch9wavefront6targetE0EEEvSY_: ; @_ZN7rocprim17ROCPRIM_400000_NS6detail17trampoline_kernelINS0_14default_configENS1_22reduce_config_selectorIN6thrust23THRUST_200600_302600_NS5tupleIbffNS6_9null_typeES8_S8_S8_S8_S8_S8_EEEEZNS1_11reduce_implILb1ES3_NS6_11hip_rocprim26transform_input_iterator_tIS9_NS6_12zip_iteratorINS7_INS6_17counting_iteratorIiNS6_11use_defaultESG_SG_EENS6_6detail15normal_iteratorINS6_10device_ptrIfEEEES8_S8_S8_S8_S8_S8_S8_S8_EEEE15transform_tupleIifEEEPS9_S9_12reduce_tupleIifEEE10hipError_tPvRmT1_T2_T3_mT4_P12ihipStream_tbEUlT_E1_NS1_11comp_targetILNS1_3genE9ELNS1_11target_archE1100ELNS1_3gpuE3ELNS1_3repE0EEENS1_30default_config_static_selectorELNS0_4arch9wavefront6targetE0EEEvSY_
; %bb.0:
	.section	.rodata,"a",@progbits
	.p2align	6, 0x0
	.amdhsa_kernel _ZN7rocprim17ROCPRIM_400000_NS6detail17trampoline_kernelINS0_14default_configENS1_22reduce_config_selectorIN6thrust23THRUST_200600_302600_NS5tupleIbffNS6_9null_typeES8_S8_S8_S8_S8_S8_EEEEZNS1_11reduce_implILb1ES3_NS6_11hip_rocprim26transform_input_iterator_tIS9_NS6_12zip_iteratorINS7_INS6_17counting_iteratorIiNS6_11use_defaultESG_SG_EENS6_6detail15normal_iteratorINS6_10device_ptrIfEEEES8_S8_S8_S8_S8_S8_S8_S8_EEEE15transform_tupleIifEEEPS9_S9_12reduce_tupleIifEEE10hipError_tPvRmT1_T2_T3_mT4_P12ihipStream_tbEUlT_E1_NS1_11comp_targetILNS1_3genE9ELNS1_11target_archE1100ELNS1_3gpuE3ELNS1_3repE0EEENS1_30default_config_static_selectorELNS0_4arch9wavefront6targetE0EEEvSY_
		.amdhsa_group_segment_fixed_size 0
		.amdhsa_private_segment_fixed_size 0
		.amdhsa_kernarg_size 64
		.amdhsa_user_sgpr_count 2
		.amdhsa_user_sgpr_dispatch_ptr 0
		.amdhsa_user_sgpr_queue_ptr 0
		.amdhsa_user_sgpr_kernarg_segment_ptr 1
		.amdhsa_user_sgpr_dispatch_id 0
		.amdhsa_user_sgpr_kernarg_preload_length 0
		.amdhsa_user_sgpr_kernarg_preload_offset 0
		.amdhsa_user_sgpr_private_segment_size 0
		.amdhsa_wavefront_size32 1
		.amdhsa_uses_dynamic_stack 0
		.amdhsa_enable_private_segment 0
		.amdhsa_system_sgpr_workgroup_id_x 1
		.amdhsa_system_sgpr_workgroup_id_y 0
		.amdhsa_system_sgpr_workgroup_id_z 0
		.amdhsa_system_sgpr_workgroup_info 0
		.amdhsa_system_vgpr_workitem_id 0
		.amdhsa_next_free_vgpr 1
		.amdhsa_next_free_sgpr 1
		.amdhsa_named_barrier_count 0
		.amdhsa_reserve_vcc 0
		.amdhsa_float_round_mode_32 0
		.amdhsa_float_round_mode_16_64 0
		.amdhsa_float_denorm_mode_32 3
		.amdhsa_float_denorm_mode_16_64 3
		.amdhsa_fp16_overflow 0
		.amdhsa_memory_ordered 1
		.amdhsa_forward_progress 1
		.amdhsa_inst_pref_size 0
		.amdhsa_round_robin_scheduling 0
		.amdhsa_exception_fp_ieee_invalid_op 0
		.amdhsa_exception_fp_denorm_src 0
		.amdhsa_exception_fp_ieee_div_zero 0
		.amdhsa_exception_fp_ieee_overflow 0
		.amdhsa_exception_fp_ieee_underflow 0
		.amdhsa_exception_fp_ieee_inexact 0
		.amdhsa_exception_int_div_zero 0
	.end_amdhsa_kernel
	.section	.text._ZN7rocprim17ROCPRIM_400000_NS6detail17trampoline_kernelINS0_14default_configENS1_22reduce_config_selectorIN6thrust23THRUST_200600_302600_NS5tupleIbffNS6_9null_typeES8_S8_S8_S8_S8_S8_EEEEZNS1_11reduce_implILb1ES3_NS6_11hip_rocprim26transform_input_iterator_tIS9_NS6_12zip_iteratorINS7_INS6_17counting_iteratorIiNS6_11use_defaultESG_SG_EENS6_6detail15normal_iteratorINS6_10device_ptrIfEEEES8_S8_S8_S8_S8_S8_S8_S8_EEEE15transform_tupleIifEEEPS9_S9_12reduce_tupleIifEEE10hipError_tPvRmT1_T2_T3_mT4_P12ihipStream_tbEUlT_E1_NS1_11comp_targetILNS1_3genE9ELNS1_11target_archE1100ELNS1_3gpuE3ELNS1_3repE0EEENS1_30default_config_static_selectorELNS0_4arch9wavefront6targetE0EEEvSY_,"axG",@progbits,_ZN7rocprim17ROCPRIM_400000_NS6detail17trampoline_kernelINS0_14default_configENS1_22reduce_config_selectorIN6thrust23THRUST_200600_302600_NS5tupleIbffNS6_9null_typeES8_S8_S8_S8_S8_S8_EEEEZNS1_11reduce_implILb1ES3_NS6_11hip_rocprim26transform_input_iterator_tIS9_NS6_12zip_iteratorINS7_INS6_17counting_iteratorIiNS6_11use_defaultESG_SG_EENS6_6detail15normal_iteratorINS6_10device_ptrIfEEEES8_S8_S8_S8_S8_S8_S8_S8_EEEE15transform_tupleIifEEEPS9_S9_12reduce_tupleIifEEE10hipError_tPvRmT1_T2_T3_mT4_P12ihipStream_tbEUlT_E1_NS1_11comp_targetILNS1_3genE9ELNS1_11target_archE1100ELNS1_3gpuE3ELNS1_3repE0EEENS1_30default_config_static_selectorELNS0_4arch9wavefront6targetE0EEEvSY_,comdat
.Lfunc_end35:
	.size	_ZN7rocprim17ROCPRIM_400000_NS6detail17trampoline_kernelINS0_14default_configENS1_22reduce_config_selectorIN6thrust23THRUST_200600_302600_NS5tupleIbffNS6_9null_typeES8_S8_S8_S8_S8_S8_EEEEZNS1_11reduce_implILb1ES3_NS6_11hip_rocprim26transform_input_iterator_tIS9_NS6_12zip_iteratorINS7_INS6_17counting_iteratorIiNS6_11use_defaultESG_SG_EENS6_6detail15normal_iteratorINS6_10device_ptrIfEEEES8_S8_S8_S8_S8_S8_S8_S8_EEEE15transform_tupleIifEEEPS9_S9_12reduce_tupleIifEEE10hipError_tPvRmT1_T2_T3_mT4_P12ihipStream_tbEUlT_E1_NS1_11comp_targetILNS1_3genE9ELNS1_11target_archE1100ELNS1_3gpuE3ELNS1_3repE0EEENS1_30default_config_static_selectorELNS0_4arch9wavefront6targetE0EEEvSY_, .Lfunc_end35-_ZN7rocprim17ROCPRIM_400000_NS6detail17trampoline_kernelINS0_14default_configENS1_22reduce_config_selectorIN6thrust23THRUST_200600_302600_NS5tupleIbffNS6_9null_typeES8_S8_S8_S8_S8_S8_EEEEZNS1_11reduce_implILb1ES3_NS6_11hip_rocprim26transform_input_iterator_tIS9_NS6_12zip_iteratorINS7_INS6_17counting_iteratorIiNS6_11use_defaultESG_SG_EENS6_6detail15normal_iteratorINS6_10device_ptrIfEEEES8_S8_S8_S8_S8_S8_S8_S8_EEEE15transform_tupleIifEEEPS9_S9_12reduce_tupleIifEEE10hipError_tPvRmT1_T2_T3_mT4_P12ihipStream_tbEUlT_E1_NS1_11comp_targetILNS1_3genE9ELNS1_11target_archE1100ELNS1_3gpuE3ELNS1_3repE0EEENS1_30default_config_static_selectorELNS0_4arch9wavefront6targetE0EEEvSY_
                                        ; -- End function
	.set _ZN7rocprim17ROCPRIM_400000_NS6detail17trampoline_kernelINS0_14default_configENS1_22reduce_config_selectorIN6thrust23THRUST_200600_302600_NS5tupleIbffNS6_9null_typeES8_S8_S8_S8_S8_S8_EEEEZNS1_11reduce_implILb1ES3_NS6_11hip_rocprim26transform_input_iterator_tIS9_NS6_12zip_iteratorINS7_INS6_17counting_iteratorIiNS6_11use_defaultESG_SG_EENS6_6detail15normal_iteratorINS6_10device_ptrIfEEEES8_S8_S8_S8_S8_S8_S8_S8_EEEE15transform_tupleIifEEEPS9_S9_12reduce_tupleIifEEE10hipError_tPvRmT1_T2_T3_mT4_P12ihipStream_tbEUlT_E1_NS1_11comp_targetILNS1_3genE9ELNS1_11target_archE1100ELNS1_3gpuE3ELNS1_3repE0EEENS1_30default_config_static_selectorELNS0_4arch9wavefront6targetE0EEEvSY_.num_vgpr, 0
	.set _ZN7rocprim17ROCPRIM_400000_NS6detail17trampoline_kernelINS0_14default_configENS1_22reduce_config_selectorIN6thrust23THRUST_200600_302600_NS5tupleIbffNS6_9null_typeES8_S8_S8_S8_S8_S8_EEEEZNS1_11reduce_implILb1ES3_NS6_11hip_rocprim26transform_input_iterator_tIS9_NS6_12zip_iteratorINS7_INS6_17counting_iteratorIiNS6_11use_defaultESG_SG_EENS6_6detail15normal_iteratorINS6_10device_ptrIfEEEES8_S8_S8_S8_S8_S8_S8_S8_EEEE15transform_tupleIifEEEPS9_S9_12reduce_tupleIifEEE10hipError_tPvRmT1_T2_T3_mT4_P12ihipStream_tbEUlT_E1_NS1_11comp_targetILNS1_3genE9ELNS1_11target_archE1100ELNS1_3gpuE3ELNS1_3repE0EEENS1_30default_config_static_selectorELNS0_4arch9wavefront6targetE0EEEvSY_.num_agpr, 0
	.set _ZN7rocprim17ROCPRIM_400000_NS6detail17trampoline_kernelINS0_14default_configENS1_22reduce_config_selectorIN6thrust23THRUST_200600_302600_NS5tupleIbffNS6_9null_typeES8_S8_S8_S8_S8_S8_EEEEZNS1_11reduce_implILb1ES3_NS6_11hip_rocprim26transform_input_iterator_tIS9_NS6_12zip_iteratorINS7_INS6_17counting_iteratorIiNS6_11use_defaultESG_SG_EENS6_6detail15normal_iteratorINS6_10device_ptrIfEEEES8_S8_S8_S8_S8_S8_S8_S8_EEEE15transform_tupleIifEEEPS9_S9_12reduce_tupleIifEEE10hipError_tPvRmT1_T2_T3_mT4_P12ihipStream_tbEUlT_E1_NS1_11comp_targetILNS1_3genE9ELNS1_11target_archE1100ELNS1_3gpuE3ELNS1_3repE0EEENS1_30default_config_static_selectorELNS0_4arch9wavefront6targetE0EEEvSY_.numbered_sgpr, 0
	.set _ZN7rocprim17ROCPRIM_400000_NS6detail17trampoline_kernelINS0_14default_configENS1_22reduce_config_selectorIN6thrust23THRUST_200600_302600_NS5tupleIbffNS6_9null_typeES8_S8_S8_S8_S8_S8_EEEEZNS1_11reduce_implILb1ES3_NS6_11hip_rocprim26transform_input_iterator_tIS9_NS6_12zip_iteratorINS7_INS6_17counting_iteratorIiNS6_11use_defaultESG_SG_EENS6_6detail15normal_iteratorINS6_10device_ptrIfEEEES8_S8_S8_S8_S8_S8_S8_S8_EEEE15transform_tupleIifEEEPS9_S9_12reduce_tupleIifEEE10hipError_tPvRmT1_T2_T3_mT4_P12ihipStream_tbEUlT_E1_NS1_11comp_targetILNS1_3genE9ELNS1_11target_archE1100ELNS1_3gpuE3ELNS1_3repE0EEENS1_30default_config_static_selectorELNS0_4arch9wavefront6targetE0EEEvSY_.num_named_barrier, 0
	.set _ZN7rocprim17ROCPRIM_400000_NS6detail17trampoline_kernelINS0_14default_configENS1_22reduce_config_selectorIN6thrust23THRUST_200600_302600_NS5tupleIbffNS6_9null_typeES8_S8_S8_S8_S8_S8_EEEEZNS1_11reduce_implILb1ES3_NS6_11hip_rocprim26transform_input_iterator_tIS9_NS6_12zip_iteratorINS7_INS6_17counting_iteratorIiNS6_11use_defaultESG_SG_EENS6_6detail15normal_iteratorINS6_10device_ptrIfEEEES8_S8_S8_S8_S8_S8_S8_S8_EEEE15transform_tupleIifEEEPS9_S9_12reduce_tupleIifEEE10hipError_tPvRmT1_T2_T3_mT4_P12ihipStream_tbEUlT_E1_NS1_11comp_targetILNS1_3genE9ELNS1_11target_archE1100ELNS1_3gpuE3ELNS1_3repE0EEENS1_30default_config_static_selectorELNS0_4arch9wavefront6targetE0EEEvSY_.private_seg_size, 0
	.set _ZN7rocprim17ROCPRIM_400000_NS6detail17trampoline_kernelINS0_14default_configENS1_22reduce_config_selectorIN6thrust23THRUST_200600_302600_NS5tupleIbffNS6_9null_typeES8_S8_S8_S8_S8_S8_EEEEZNS1_11reduce_implILb1ES3_NS6_11hip_rocprim26transform_input_iterator_tIS9_NS6_12zip_iteratorINS7_INS6_17counting_iteratorIiNS6_11use_defaultESG_SG_EENS6_6detail15normal_iteratorINS6_10device_ptrIfEEEES8_S8_S8_S8_S8_S8_S8_S8_EEEE15transform_tupleIifEEEPS9_S9_12reduce_tupleIifEEE10hipError_tPvRmT1_T2_T3_mT4_P12ihipStream_tbEUlT_E1_NS1_11comp_targetILNS1_3genE9ELNS1_11target_archE1100ELNS1_3gpuE3ELNS1_3repE0EEENS1_30default_config_static_selectorELNS0_4arch9wavefront6targetE0EEEvSY_.uses_vcc, 0
	.set _ZN7rocprim17ROCPRIM_400000_NS6detail17trampoline_kernelINS0_14default_configENS1_22reduce_config_selectorIN6thrust23THRUST_200600_302600_NS5tupleIbffNS6_9null_typeES8_S8_S8_S8_S8_S8_EEEEZNS1_11reduce_implILb1ES3_NS6_11hip_rocprim26transform_input_iterator_tIS9_NS6_12zip_iteratorINS7_INS6_17counting_iteratorIiNS6_11use_defaultESG_SG_EENS6_6detail15normal_iteratorINS6_10device_ptrIfEEEES8_S8_S8_S8_S8_S8_S8_S8_EEEE15transform_tupleIifEEEPS9_S9_12reduce_tupleIifEEE10hipError_tPvRmT1_T2_T3_mT4_P12ihipStream_tbEUlT_E1_NS1_11comp_targetILNS1_3genE9ELNS1_11target_archE1100ELNS1_3gpuE3ELNS1_3repE0EEENS1_30default_config_static_selectorELNS0_4arch9wavefront6targetE0EEEvSY_.uses_flat_scratch, 0
	.set _ZN7rocprim17ROCPRIM_400000_NS6detail17trampoline_kernelINS0_14default_configENS1_22reduce_config_selectorIN6thrust23THRUST_200600_302600_NS5tupleIbffNS6_9null_typeES8_S8_S8_S8_S8_S8_EEEEZNS1_11reduce_implILb1ES3_NS6_11hip_rocprim26transform_input_iterator_tIS9_NS6_12zip_iteratorINS7_INS6_17counting_iteratorIiNS6_11use_defaultESG_SG_EENS6_6detail15normal_iteratorINS6_10device_ptrIfEEEES8_S8_S8_S8_S8_S8_S8_S8_EEEE15transform_tupleIifEEEPS9_S9_12reduce_tupleIifEEE10hipError_tPvRmT1_T2_T3_mT4_P12ihipStream_tbEUlT_E1_NS1_11comp_targetILNS1_3genE9ELNS1_11target_archE1100ELNS1_3gpuE3ELNS1_3repE0EEENS1_30default_config_static_selectorELNS0_4arch9wavefront6targetE0EEEvSY_.has_dyn_sized_stack, 0
	.set _ZN7rocprim17ROCPRIM_400000_NS6detail17trampoline_kernelINS0_14default_configENS1_22reduce_config_selectorIN6thrust23THRUST_200600_302600_NS5tupleIbffNS6_9null_typeES8_S8_S8_S8_S8_S8_EEEEZNS1_11reduce_implILb1ES3_NS6_11hip_rocprim26transform_input_iterator_tIS9_NS6_12zip_iteratorINS7_INS6_17counting_iteratorIiNS6_11use_defaultESG_SG_EENS6_6detail15normal_iteratorINS6_10device_ptrIfEEEES8_S8_S8_S8_S8_S8_S8_S8_EEEE15transform_tupleIifEEEPS9_S9_12reduce_tupleIifEEE10hipError_tPvRmT1_T2_T3_mT4_P12ihipStream_tbEUlT_E1_NS1_11comp_targetILNS1_3genE9ELNS1_11target_archE1100ELNS1_3gpuE3ELNS1_3repE0EEENS1_30default_config_static_selectorELNS0_4arch9wavefront6targetE0EEEvSY_.has_recursion, 0
	.set _ZN7rocprim17ROCPRIM_400000_NS6detail17trampoline_kernelINS0_14default_configENS1_22reduce_config_selectorIN6thrust23THRUST_200600_302600_NS5tupleIbffNS6_9null_typeES8_S8_S8_S8_S8_S8_EEEEZNS1_11reduce_implILb1ES3_NS6_11hip_rocprim26transform_input_iterator_tIS9_NS6_12zip_iteratorINS7_INS6_17counting_iteratorIiNS6_11use_defaultESG_SG_EENS6_6detail15normal_iteratorINS6_10device_ptrIfEEEES8_S8_S8_S8_S8_S8_S8_S8_EEEE15transform_tupleIifEEEPS9_S9_12reduce_tupleIifEEE10hipError_tPvRmT1_T2_T3_mT4_P12ihipStream_tbEUlT_E1_NS1_11comp_targetILNS1_3genE9ELNS1_11target_archE1100ELNS1_3gpuE3ELNS1_3repE0EEENS1_30default_config_static_selectorELNS0_4arch9wavefront6targetE0EEEvSY_.has_indirect_call, 0
	.section	.AMDGPU.csdata,"",@progbits
; Kernel info:
; codeLenInByte = 0
; TotalNumSgprs: 0
; NumVgprs: 0
; ScratchSize: 0
; MemoryBound: 0
; FloatMode: 240
; IeeeMode: 1
; LDSByteSize: 0 bytes/workgroup (compile time only)
; SGPRBlocks: 0
; VGPRBlocks: 0
; NumSGPRsForWavesPerEU: 1
; NumVGPRsForWavesPerEU: 1
; NamedBarCnt: 0
; Occupancy: 16
; WaveLimiterHint : 0
; COMPUTE_PGM_RSRC2:SCRATCH_EN: 0
; COMPUTE_PGM_RSRC2:USER_SGPR: 2
; COMPUTE_PGM_RSRC2:TRAP_HANDLER: 0
; COMPUTE_PGM_RSRC2:TGID_X_EN: 1
; COMPUTE_PGM_RSRC2:TGID_Y_EN: 0
; COMPUTE_PGM_RSRC2:TGID_Z_EN: 0
; COMPUTE_PGM_RSRC2:TIDIG_COMP_CNT: 0
	.section	.text._ZN7rocprim17ROCPRIM_400000_NS6detail17trampoline_kernelINS0_14default_configENS1_22reduce_config_selectorIN6thrust23THRUST_200600_302600_NS5tupleIbffNS6_9null_typeES8_S8_S8_S8_S8_S8_EEEEZNS1_11reduce_implILb1ES3_NS6_11hip_rocprim26transform_input_iterator_tIS9_NS6_12zip_iteratorINS7_INS6_17counting_iteratorIiNS6_11use_defaultESG_SG_EENS6_6detail15normal_iteratorINS6_10device_ptrIfEEEES8_S8_S8_S8_S8_S8_S8_S8_EEEE15transform_tupleIifEEEPS9_S9_12reduce_tupleIifEEE10hipError_tPvRmT1_T2_T3_mT4_P12ihipStream_tbEUlT_E1_NS1_11comp_targetILNS1_3genE8ELNS1_11target_archE1030ELNS1_3gpuE2ELNS1_3repE0EEENS1_30default_config_static_selectorELNS0_4arch9wavefront6targetE0EEEvSY_,"axG",@progbits,_ZN7rocprim17ROCPRIM_400000_NS6detail17trampoline_kernelINS0_14default_configENS1_22reduce_config_selectorIN6thrust23THRUST_200600_302600_NS5tupleIbffNS6_9null_typeES8_S8_S8_S8_S8_S8_EEEEZNS1_11reduce_implILb1ES3_NS6_11hip_rocprim26transform_input_iterator_tIS9_NS6_12zip_iteratorINS7_INS6_17counting_iteratorIiNS6_11use_defaultESG_SG_EENS6_6detail15normal_iteratorINS6_10device_ptrIfEEEES8_S8_S8_S8_S8_S8_S8_S8_EEEE15transform_tupleIifEEEPS9_S9_12reduce_tupleIifEEE10hipError_tPvRmT1_T2_T3_mT4_P12ihipStream_tbEUlT_E1_NS1_11comp_targetILNS1_3genE8ELNS1_11target_archE1030ELNS1_3gpuE2ELNS1_3repE0EEENS1_30default_config_static_selectorELNS0_4arch9wavefront6targetE0EEEvSY_,comdat
	.protected	_ZN7rocprim17ROCPRIM_400000_NS6detail17trampoline_kernelINS0_14default_configENS1_22reduce_config_selectorIN6thrust23THRUST_200600_302600_NS5tupleIbffNS6_9null_typeES8_S8_S8_S8_S8_S8_EEEEZNS1_11reduce_implILb1ES3_NS6_11hip_rocprim26transform_input_iterator_tIS9_NS6_12zip_iteratorINS7_INS6_17counting_iteratorIiNS6_11use_defaultESG_SG_EENS6_6detail15normal_iteratorINS6_10device_ptrIfEEEES8_S8_S8_S8_S8_S8_S8_S8_EEEE15transform_tupleIifEEEPS9_S9_12reduce_tupleIifEEE10hipError_tPvRmT1_T2_T3_mT4_P12ihipStream_tbEUlT_E1_NS1_11comp_targetILNS1_3genE8ELNS1_11target_archE1030ELNS1_3gpuE2ELNS1_3repE0EEENS1_30default_config_static_selectorELNS0_4arch9wavefront6targetE0EEEvSY_ ; -- Begin function _ZN7rocprim17ROCPRIM_400000_NS6detail17trampoline_kernelINS0_14default_configENS1_22reduce_config_selectorIN6thrust23THRUST_200600_302600_NS5tupleIbffNS6_9null_typeES8_S8_S8_S8_S8_S8_EEEEZNS1_11reduce_implILb1ES3_NS6_11hip_rocprim26transform_input_iterator_tIS9_NS6_12zip_iteratorINS7_INS6_17counting_iteratorIiNS6_11use_defaultESG_SG_EENS6_6detail15normal_iteratorINS6_10device_ptrIfEEEES8_S8_S8_S8_S8_S8_S8_S8_EEEE15transform_tupleIifEEEPS9_S9_12reduce_tupleIifEEE10hipError_tPvRmT1_T2_T3_mT4_P12ihipStream_tbEUlT_E1_NS1_11comp_targetILNS1_3genE8ELNS1_11target_archE1030ELNS1_3gpuE2ELNS1_3repE0EEENS1_30default_config_static_selectorELNS0_4arch9wavefront6targetE0EEEvSY_
	.globl	_ZN7rocprim17ROCPRIM_400000_NS6detail17trampoline_kernelINS0_14default_configENS1_22reduce_config_selectorIN6thrust23THRUST_200600_302600_NS5tupleIbffNS6_9null_typeES8_S8_S8_S8_S8_S8_EEEEZNS1_11reduce_implILb1ES3_NS6_11hip_rocprim26transform_input_iterator_tIS9_NS6_12zip_iteratorINS7_INS6_17counting_iteratorIiNS6_11use_defaultESG_SG_EENS6_6detail15normal_iteratorINS6_10device_ptrIfEEEES8_S8_S8_S8_S8_S8_S8_S8_EEEE15transform_tupleIifEEEPS9_S9_12reduce_tupleIifEEE10hipError_tPvRmT1_T2_T3_mT4_P12ihipStream_tbEUlT_E1_NS1_11comp_targetILNS1_3genE8ELNS1_11target_archE1030ELNS1_3gpuE2ELNS1_3repE0EEENS1_30default_config_static_selectorELNS0_4arch9wavefront6targetE0EEEvSY_
	.p2align	8
	.type	_ZN7rocprim17ROCPRIM_400000_NS6detail17trampoline_kernelINS0_14default_configENS1_22reduce_config_selectorIN6thrust23THRUST_200600_302600_NS5tupleIbffNS6_9null_typeES8_S8_S8_S8_S8_S8_EEEEZNS1_11reduce_implILb1ES3_NS6_11hip_rocprim26transform_input_iterator_tIS9_NS6_12zip_iteratorINS7_INS6_17counting_iteratorIiNS6_11use_defaultESG_SG_EENS6_6detail15normal_iteratorINS6_10device_ptrIfEEEES8_S8_S8_S8_S8_S8_S8_S8_EEEE15transform_tupleIifEEEPS9_S9_12reduce_tupleIifEEE10hipError_tPvRmT1_T2_T3_mT4_P12ihipStream_tbEUlT_E1_NS1_11comp_targetILNS1_3genE8ELNS1_11target_archE1030ELNS1_3gpuE2ELNS1_3repE0EEENS1_30default_config_static_selectorELNS0_4arch9wavefront6targetE0EEEvSY_,@function
_ZN7rocprim17ROCPRIM_400000_NS6detail17trampoline_kernelINS0_14default_configENS1_22reduce_config_selectorIN6thrust23THRUST_200600_302600_NS5tupleIbffNS6_9null_typeES8_S8_S8_S8_S8_S8_EEEEZNS1_11reduce_implILb1ES3_NS6_11hip_rocprim26transform_input_iterator_tIS9_NS6_12zip_iteratorINS7_INS6_17counting_iteratorIiNS6_11use_defaultESG_SG_EENS6_6detail15normal_iteratorINS6_10device_ptrIfEEEES8_S8_S8_S8_S8_S8_S8_S8_EEEE15transform_tupleIifEEEPS9_S9_12reduce_tupleIifEEE10hipError_tPvRmT1_T2_T3_mT4_P12ihipStream_tbEUlT_E1_NS1_11comp_targetILNS1_3genE8ELNS1_11target_archE1030ELNS1_3gpuE2ELNS1_3repE0EEENS1_30default_config_static_selectorELNS0_4arch9wavefront6targetE0EEEvSY_: ; @_ZN7rocprim17ROCPRIM_400000_NS6detail17trampoline_kernelINS0_14default_configENS1_22reduce_config_selectorIN6thrust23THRUST_200600_302600_NS5tupleIbffNS6_9null_typeES8_S8_S8_S8_S8_S8_EEEEZNS1_11reduce_implILb1ES3_NS6_11hip_rocprim26transform_input_iterator_tIS9_NS6_12zip_iteratorINS7_INS6_17counting_iteratorIiNS6_11use_defaultESG_SG_EENS6_6detail15normal_iteratorINS6_10device_ptrIfEEEES8_S8_S8_S8_S8_S8_S8_S8_EEEE15transform_tupleIifEEEPS9_S9_12reduce_tupleIifEEE10hipError_tPvRmT1_T2_T3_mT4_P12ihipStream_tbEUlT_E1_NS1_11comp_targetILNS1_3genE8ELNS1_11target_archE1030ELNS1_3gpuE2ELNS1_3repE0EEENS1_30default_config_static_selectorELNS0_4arch9wavefront6targetE0EEEvSY_
; %bb.0:
	.section	.rodata,"a",@progbits
	.p2align	6, 0x0
	.amdhsa_kernel _ZN7rocprim17ROCPRIM_400000_NS6detail17trampoline_kernelINS0_14default_configENS1_22reduce_config_selectorIN6thrust23THRUST_200600_302600_NS5tupleIbffNS6_9null_typeES8_S8_S8_S8_S8_S8_EEEEZNS1_11reduce_implILb1ES3_NS6_11hip_rocprim26transform_input_iterator_tIS9_NS6_12zip_iteratorINS7_INS6_17counting_iteratorIiNS6_11use_defaultESG_SG_EENS6_6detail15normal_iteratorINS6_10device_ptrIfEEEES8_S8_S8_S8_S8_S8_S8_S8_EEEE15transform_tupleIifEEEPS9_S9_12reduce_tupleIifEEE10hipError_tPvRmT1_T2_T3_mT4_P12ihipStream_tbEUlT_E1_NS1_11comp_targetILNS1_3genE8ELNS1_11target_archE1030ELNS1_3gpuE2ELNS1_3repE0EEENS1_30default_config_static_selectorELNS0_4arch9wavefront6targetE0EEEvSY_
		.amdhsa_group_segment_fixed_size 0
		.amdhsa_private_segment_fixed_size 0
		.amdhsa_kernarg_size 64
		.amdhsa_user_sgpr_count 2
		.amdhsa_user_sgpr_dispatch_ptr 0
		.amdhsa_user_sgpr_queue_ptr 0
		.amdhsa_user_sgpr_kernarg_segment_ptr 1
		.amdhsa_user_sgpr_dispatch_id 0
		.amdhsa_user_sgpr_kernarg_preload_length 0
		.amdhsa_user_sgpr_kernarg_preload_offset 0
		.amdhsa_user_sgpr_private_segment_size 0
		.amdhsa_wavefront_size32 1
		.amdhsa_uses_dynamic_stack 0
		.amdhsa_enable_private_segment 0
		.amdhsa_system_sgpr_workgroup_id_x 1
		.amdhsa_system_sgpr_workgroup_id_y 0
		.amdhsa_system_sgpr_workgroup_id_z 0
		.amdhsa_system_sgpr_workgroup_info 0
		.amdhsa_system_vgpr_workitem_id 0
		.amdhsa_next_free_vgpr 1
		.amdhsa_next_free_sgpr 1
		.amdhsa_named_barrier_count 0
		.amdhsa_reserve_vcc 0
		.amdhsa_float_round_mode_32 0
		.amdhsa_float_round_mode_16_64 0
		.amdhsa_float_denorm_mode_32 3
		.amdhsa_float_denorm_mode_16_64 3
		.amdhsa_fp16_overflow 0
		.amdhsa_memory_ordered 1
		.amdhsa_forward_progress 1
		.amdhsa_inst_pref_size 0
		.amdhsa_round_robin_scheduling 0
		.amdhsa_exception_fp_ieee_invalid_op 0
		.amdhsa_exception_fp_denorm_src 0
		.amdhsa_exception_fp_ieee_div_zero 0
		.amdhsa_exception_fp_ieee_overflow 0
		.amdhsa_exception_fp_ieee_underflow 0
		.amdhsa_exception_fp_ieee_inexact 0
		.amdhsa_exception_int_div_zero 0
	.end_amdhsa_kernel
	.section	.text._ZN7rocprim17ROCPRIM_400000_NS6detail17trampoline_kernelINS0_14default_configENS1_22reduce_config_selectorIN6thrust23THRUST_200600_302600_NS5tupleIbffNS6_9null_typeES8_S8_S8_S8_S8_S8_EEEEZNS1_11reduce_implILb1ES3_NS6_11hip_rocprim26transform_input_iterator_tIS9_NS6_12zip_iteratorINS7_INS6_17counting_iteratorIiNS6_11use_defaultESG_SG_EENS6_6detail15normal_iteratorINS6_10device_ptrIfEEEES8_S8_S8_S8_S8_S8_S8_S8_EEEE15transform_tupleIifEEEPS9_S9_12reduce_tupleIifEEE10hipError_tPvRmT1_T2_T3_mT4_P12ihipStream_tbEUlT_E1_NS1_11comp_targetILNS1_3genE8ELNS1_11target_archE1030ELNS1_3gpuE2ELNS1_3repE0EEENS1_30default_config_static_selectorELNS0_4arch9wavefront6targetE0EEEvSY_,"axG",@progbits,_ZN7rocprim17ROCPRIM_400000_NS6detail17trampoline_kernelINS0_14default_configENS1_22reduce_config_selectorIN6thrust23THRUST_200600_302600_NS5tupleIbffNS6_9null_typeES8_S8_S8_S8_S8_S8_EEEEZNS1_11reduce_implILb1ES3_NS6_11hip_rocprim26transform_input_iterator_tIS9_NS6_12zip_iteratorINS7_INS6_17counting_iteratorIiNS6_11use_defaultESG_SG_EENS6_6detail15normal_iteratorINS6_10device_ptrIfEEEES8_S8_S8_S8_S8_S8_S8_S8_EEEE15transform_tupleIifEEEPS9_S9_12reduce_tupleIifEEE10hipError_tPvRmT1_T2_T3_mT4_P12ihipStream_tbEUlT_E1_NS1_11comp_targetILNS1_3genE8ELNS1_11target_archE1030ELNS1_3gpuE2ELNS1_3repE0EEENS1_30default_config_static_selectorELNS0_4arch9wavefront6targetE0EEEvSY_,comdat
.Lfunc_end36:
	.size	_ZN7rocprim17ROCPRIM_400000_NS6detail17trampoline_kernelINS0_14default_configENS1_22reduce_config_selectorIN6thrust23THRUST_200600_302600_NS5tupleIbffNS6_9null_typeES8_S8_S8_S8_S8_S8_EEEEZNS1_11reduce_implILb1ES3_NS6_11hip_rocprim26transform_input_iterator_tIS9_NS6_12zip_iteratorINS7_INS6_17counting_iteratorIiNS6_11use_defaultESG_SG_EENS6_6detail15normal_iteratorINS6_10device_ptrIfEEEES8_S8_S8_S8_S8_S8_S8_S8_EEEE15transform_tupleIifEEEPS9_S9_12reduce_tupleIifEEE10hipError_tPvRmT1_T2_T3_mT4_P12ihipStream_tbEUlT_E1_NS1_11comp_targetILNS1_3genE8ELNS1_11target_archE1030ELNS1_3gpuE2ELNS1_3repE0EEENS1_30default_config_static_selectorELNS0_4arch9wavefront6targetE0EEEvSY_, .Lfunc_end36-_ZN7rocprim17ROCPRIM_400000_NS6detail17trampoline_kernelINS0_14default_configENS1_22reduce_config_selectorIN6thrust23THRUST_200600_302600_NS5tupleIbffNS6_9null_typeES8_S8_S8_S8_S8_S8_EEEEZNS1_11reduce_implILb1ES3_NS6_11hip_rocprim26transform_input_iterator_tIS9_NS6_12zip_iteratorINS7_INS6_17counting_iteratorIiNS6_11use_defaultESG_SG_EENS6_6detail15normal_iteratorINS6_10device_ptrIfEEEES8_S8_S8_S8_S8_S8_S8_S8_EEEE15transform_tupleIifEEEPS9_S9_12reduce_tupleIifEEE10hipError_tPvRmT1_T2_T3_mT4_P12ihipStream_tbEUlT_E1_NS1_11comp_targetILNS1_3genE8ELNS1_11target_archE1030ELNS1_3gpuE2ELNS1_3repE0EEENS1_30default_config_static_selectorELNS0_4arch9wavefront6targetE0EEEvSY_
                                        ; -- End function
	.set _ZN7rocprim17ROCPRIM_400000_NS6detail17trampoline_kernelINS0_14default_configENS1_22reduce_config_selectorIN6thrust23THRUST_200600_302600_NS5tupleIbffNS6_9null_typeES8_S8_S8_S8_S8_S8_EEEEZNS1_11reduce_implILb1ES3_NS6_11hip_rocprim26transform_input_iterator_tIS9_NS6_12zip_iteratorINS7_INS6_17counting_iteratorIiNS6_11use_defaultESG_SG_EENS6_6detail15normal_iteratorINS6_10device_ptrIfEEEES8_S8_S8_S8_S8_S8_S8_S8_EEEE15transform_tupleIifEEEPS9_S9_12reduce_tupleIifEEE10hipError_tPvRmT1_T2_T3_mT4_P12ihipStream_tbEUlT_E1_NS1_11comp_targetILNS1_3genE8ELNS1_11target_archE1030ELNS1_3gpuE2ELNS1_3repE0EEENS1_30default_config_static_selectorELNS0_4arch9wavefront6targetE0EEEvSY_.num_vgpr, 0
	.set _ZN7rocprim17ROCPRIM_400000_NS6detail17trampoline_kernelINS0_14default_configENS1_22reduce_config_selectorIN6thrust23THRUST_200600_302600_NS5tupleIbffNS6_9null_typeES8_S8_S8_S8_S8_S8_EEEEZNS1_11reduce_implILb1ES3_NS6_11hip_rocprim26transform_input_iterator_tIS9_NS6_12zip_iteratorINS7_INS6_17counting_iteratorIiNS6_11use_defaultESG_SG_EENS6_6detail15normal_iteratorINS6_10device_ptrIfEEEES8_S8_S8_S8_S8_S8_S8_S8_EEEE15transform_tupleIifEEEPS9_S9_12reduce_tupleIifEEE10hipError_tPvRmT1_T2_T3_mT4_P12ihipStream_tbEUlT_E1_NS1_11comp_targetILNS1_3genE8ELNS1_11target_archE1030ELNS1_3gpuE2ELNS1_3repE0EEENS1_30default_config_static_selectorELNS0_4arch9wavefront6targetE0EEEvSY_.num_agpr, 0
	.set _ZN7rocprim17ROCPRIM_400000_NS6detail17trampoline_kernelINS0_14default_configENS1_22reduce_config_selectorIN6thrust23THRUST_200600_302600_NS5tupleIbffNS6_9null_typeES8_S8_S8_S8_S8_S8_EEEEZNS1_11reduce_implILb1ES3_NS6_11hip_rocprim26transform_input_iterator_tIS9_NS6_12zip_iteratorINS7_INS6_17counting_iteratorIiNS6_11use_defaultESG_SG_EENS6_6detail15normal_iteratorINS6_10device_ptrIfEEEES8_S8_S8_S8_S8_S8_S8_S8_EEEE15transform_tupleIifEEEPS9_S9_12reduce_tupleIifEEE10hipError_tPvRmT1_T2_T3_mT4_P12ihipStream_tbEUlT_E1_NS1_11comp_targetILNS1_3genE8ELNS1_11target_archE1030ELNS1_3gpuE2ELNS1_3repE0EEENS1_30default_config_static_selectorELNS0_4arch9wavefront6targetE0EEEvSY_.numbered_sgpr, 0
	.set _ZN7rocprim17ROCPRIM_400000_NS6detail17trampoline_kernelINS0_14default_configENS1_22reduce_config_selectorIN6thrust23THRUST_200600_302600_NS5tupleIbffNS6_9null_typeES8_S8_S8_S8_S8_S8_EEEEZNS1_11reduce_implILb1ES3_NS6_11hip_rocprim26transform_input_iterator_tIS9_NS6_12zip_iteratorINS7_INS6_17counting_iteratorIiNS6_11use_defaultESG_SG_EENS6_6detail15normal_iteratorINS6_10device_ptrIfEEEES8_S8_S8_S8_S8_S8_S8_S8_EEEE15transform_tupleIifEEEPS9_S9_12reduce_tupleIifEEE10hipError_tPvRmT1_T2_T3_mT4_P12ihipStream_tbEUlT_E1_NS1_11comp_targetILNS1_3genE8ELNS1_11target_archE1030ELNS1_3gpuE2ELNS1_3repE0EEENS1_30default_config_static_selectorELNS0_4arch9wavefront6targetE0EEEvSY_.num_named_barrier, 0
	.set _ZN7rocprim17ROCPRIM_400000_NS6detail17trampoline_kernelINS0_14default_configENS1_22reduce_config_selectorIN6thrust23THRUST_200600_302600_NS5tupleIbffNS6_9null_typeES8_S8_S8_S8_S8_S8_EEEEZNS1_11reduce_implILb1ES3_NS6_11hip_rocprim26transform_input_iterator_tIS9_NS6_12zip_iteratorINS7_INS6_17counting_iteratorIiNS6_11use_defaultESG_SG_EENS6_6detail15normal_iteratorINS6_10device_ptrIfEEEES8_S8_S8_S8_S8_S8_S8_S8_EEEE15transform_tupleIifEEEPS9_S9_12reduce_tupleIifEEE10hipError_tPvRmT1_T2_T3_mT4_P12ihipStream_tbEUlT_E1_NS1_11comp_targetILNS1_3genE8ELNS1_11target_archE1030ELNS1_3gpuE2ELNS1_3repE0EEENS1_30default_config_static_selectorELNS0_4arch9wavefront6targetE0EEEvSY_.private_seg_size, 0
	.set _ZN7rocprim17ROCPRIM_400000_NS6detail17trampoline_kernelINS0_14default_configENS1_22reduce_config_selectorIN6thrust23THRUST_200600_302600_NS5tupleIbffNS6_9null_typeES8_S8_S8_S8_S8_S8_EEEEZNS1_11reduce_implILb1ES3_NS6_11hip_rocprim26transform_input_iterator_tIS9_NS6_12zip_iteratorINS7_INS6_17counting_iteratorIiNS6_11use_defaultESG_SG_EENS6_6detail15normal_iteratorINS6_10device_ptrIfEEEES8_S8_S8_S8_S8_S8_S8_S8_EEEE15transform_tupleIifEEEPS9_S9_12reduce_tupleIifEEE10hipError_tPvRmT1_T2_T3_mT4_P12ihipStream_tbEUlT_E1_NS1_11comp_targetILNS1_3genE8ELNS1_11target_archE1030ELNS1_3gpuE2ELNS1_3repE0EEENS1_30default_config_static_selectorELNS0_4arch9wavefront6targetE0EEEvSY_.uses_vcc, 0
	.set _ZN7rocprim17ROCPRIM_400000_NS6detail17trampoline_kernelINS0_14default_configENS1_22reduce_config_selectorIN6thrust23THRUST_200600_302600_NS5tupleIbffNS6_9null_typeES8_S8_S8_S8_S8_S8_EEEEZNS1_11reduce_implILb1ES3_NS6_11hip_rocprim26transform_input_iterator_tIS9_NS6_12zip_iteratorINS7_INS6_17counting_iteratorIiNS6_11use_defaultESG_SG_EENS6_6detail15normal_iteratorINS6_10device_ptrIfEEEES8_S8_S8_S8_S8_S8_S8_S8_EEEE15transform_tupleIifEEEPS9_S9_12reduce_tupleIifEEE10hipError_tPvRmT1_T2_T3_mT4_P12ihipStream_tbEUlT_E1_NS1_11comp_targetILNS1_3genE8ELNS1_11target_archE1030ELNS1_3gpuE2ELNS1_3repE0EEENS1_30default_config_static_selectorELNS0_4arch9wavefront6targetE0EEEvSY_.uses_flat_scratch, 0
	.set _ZN7rocprim17ROCPRIM_400000_NS6detail17trampoline_kernelINS0_14default_configENS1_22reduce_config_selectorIN6thrust23THRUST_200600_302600_NS5tupleIbffNS6_9null_typeES8_S8_S8_S8_S8_S8_EEEEZNS1_11reduce_implILb1ES3_NS6_11hip_rocprim26transform_input_iterator_tIS9_NS6_12zip_iteratorINS7_INS6_17counting_iteratorIiNS6_11use_defaultESG_SG_EENS6_6detail15normal_iteratorINS6_10device_ptrIfEEEES8_S8_S8_S8_S8_S8_S8_S8_EEEE15transform_tupleIifEEEPS9_S9_12reduce_tupleIifEEE10hipError_tPvRmT1_T2_T3_mT4_P12ihipStream_tbEUlT_E1_NS1_11comp_targetILNS1_3genE8ELNS1_11target_archE1030ELNS1_3gpuE2ELNS1_3repE0EEENS1_30default_config_static_selectorELNS0_4arch9wavefront6targetE0EEEvSY_.has_dyn_sized_stack, 0
	.set _ZN7rocprim17ROCPRIM_400000_NS6detail17trampoline_kernelINS0_14default_configENS1_22reduce_config_selectorIN6thrust23THRUST_200600_302600_NS5tupleIbffNS6_9null_typeES8_S8_S8_S8_S8_S8_EEEEZNS1_11reduce_implILb1ES3_NS6_11hip_rocprim26transform_input_iterator_tIS9_NS6_12zip_iteratorINS7_INS6_17counting_iteratorIiNS6_11use_defaultESG_SG_EENS6_6detail15normal_iteratorINS6_10device_ptrIfEEEES8_S8_S8_S8_S8_S8_S8_S8_EEEE15transform_tupleIifEEEPS9_S9_12reduce_tupleIifEEE10hipError_tPvRmT1_T2_T3_mT4_P12ihipStream_tbEUlT_E1_NS1_11comp_targetILNS1_3genE8ELNS1_11target_archE1030ELNS1_3gpuE2ELNS1_3repE0EEENS1_30default_config_static_selectorELNS0_4arch9wavefront6targetE0EEEvSY_.has_recursion, 0
	.set _ZN7rocprim17ROCPRIM_400000_NS6detail17trampoline_kernelINS0_14default_configENS1_22reduce_config_selectorIN6thrust23THRUST_200600_302600_NS5tupleIbffNS6_9null_typeES8_S8_S8_S8_S8_S8_EEEEZNS1_11reduce_implILb1ES3_NS6_11hip_rocprim26transform_input_iterator_tIS9_NS6_12zip_iteratorINS7_INS6_17counting_iteratorIiNS6_11use_defaultESG_SG_EENS6_6detail15normal_iteratorINS6_10device_ptrIfEEEES8_S8_S8_S8_S8_S8_S8_S8_EEEE15transform_tupleIifEEEPS9_S9_12reduce_tupleIifEEE10hipError_tPvRmT1_T2_T3_mT4_P12ihipStream_tbEUlT_E1_NS1_11comp_targetILNS1_3genE8ELNS1_11target_archE1030ELNS1_3gpuE2ELNS1_3repE0EEENS1_30default_config_static_selectorELNS0_4arch9wavefront6targetE0EEEvSY_.has_indirect_call, 0
	.section	.AMDGPU.csdata,"",@progbits
; Kernel info:
; codeLenInByte = 0
; TotalNumSgprs: 0
; NumVgprs: 0
; ScratchSize: 0
; MemoryBound: 0
; FloatMode: 240
; IeeeMode: 1
; LDSByteSize: 0 bytes/workgroup (compile time only)
; SGPRBlocks: 0
; VGPRBlocks: 0
; NumSGPRsForWavesPerEU: 1
; NumVGPRsForWavesPerEU: 1
; NamedBarCnt: 0
; Occupancy: 16
; WaveLimiterHint : 0
; COMPUTE_PGM_RSRC2:SCRATCH_EN: 0
; COMPUTE_PGM_RSRC2:USER_SGPR: 2
; COMPUTE_PGM_RSRC2:TRAP_HANDLER: 0
; COMPUTE_PGM_RSRC2:TGID_X_EN: 1
; COMPUTE_PGM_RSRC2:TGID_Y_EN: 0
; COMPUTE_PGM_RSRC2:TGID_Z_EN: 0
; COMPUTE_PGM_RSRC2:TIDIG_COMP_CNT: 0
	.section	.text._ZN6thrust23THRUST_200600_302600_NS11hip_rocprim14__parallel_for6kernelILj256ENS1_10for_each_fINS0_7pointerINS0_5tupleIbffNS0_9null_typeES7_S7_S7_S7_S7_S7_EENS1_3tagENS0_11use_defaultESA_EENS0_6detail16wrapped_functionINSC_23allocator_traits_detail24construct1_via_allocatorINSC_18no_throw_allocatorINSC_19temporary_allocatorIS8_S9_EEEEEEvEEEEmLj1EEEvT0_T1_SO_,"axG",@progbits,_ZN6thrust23THRUST_200600_302600_NS11hip_rocprim14__parallel_for6kernelILj256ENS1_10for_each_fINS0_7pointerINS0_5tupleIbffNS0_9null_typeES7_S7_S7_S7_S7_S7_EENS1_3tagENS0_11use_defaultESA_EENS0_6detail16wrapped_functionINSC_23allocator_traits_detail24construct1_via_allocatorINSC_18no_throw_allocatorINSC_19temporary_allocatorIS8_S9_EEEEEEvEEEEmLj1EEEvT0_T1_SO_,comdat
	.protected	_ZN6thrust23THRUST_200600_302600_NS11hip_rocprim14__parallel_for6kernelILj256ENS1_10for_each_fINS0_7pointerINS0_5tupleIbffNS0_9null_typeES7_S7_S7_S7_S7_S7_EENS1_3tagENS0_11use_defaultESA_EENS0_6detail16wrapped_functionINSC_23allocator_traits_detail24construct1_via_allocatorINSC_18no_throw_allocatorINSC_19temporary_allocatorIS8_S9_EEEEEEvEEEEmLj1EEEvT0_T1_SO_ ; -- Begin function _ZN6thrust23THRUST_200600_302600_NS11hip_rocprim14__parallel_for6kernelILj256ENS1_10for_each_fINS0_7pointerINS0_5tupleIbffNS0_9null_typeES7_S7_S7_S7_S7_S7_EENS1_3tagENS0_11use_defaultESA_EENS0_6detail16wrapped_functionINSC_23allocator_traits_detail24construct1_via_allocatorINSC_18no_throw_allocatorINSC_19temporary_allocatorIS8_S9_EEEEEEvEEEEmLj1EEEvT0_T1_SO_
	.globl	_ZN6thrust23THRUST_200600_302600_NS11hip_rocprim14__parallel_for6kernelILj256ENS1_10for_each_fINS0_7pointerINS0_5tupleIbffNS0_9null_typeES7_S7_S7_S7_S7_S7_EENS1_3tagENS0_11use_defaultESA_EENS0_6detail16wrapped_functionINSC_23allocator_traits_detail24construct1_via_allocatorINSC_18no_throw_allocatorINSC_19temporary_allocatorIS8_S9_EEEEEEvEEEEmLj1EEEvT0_T1_SO_
	.p2align	8
	.type	_ZN6thrust23THRUST_200600_302600_NS11hip_rocprim14__parallel_for6kernelILj256ENS1_10for_each_fINS0_7pointerINS0_5tupleIbffNS0_9null_typeES7_S7_S7_S7_S7_S7_EENS1_3tagENS0_11use_defaultESA_EENS0_6detail16wrapped_functionINSC_23allocator_traits_detail24construct1_via_allocatorINSC_18no_throw_allocatorINSC_19temporary_allocatorIS8_S9_EEEEEEvEEEEmLj1EEEvT0_T1_SO_,@function
_ZN6thrust23THRUST_200600_302600_NS11hip_rocprim14__parallel_for6kernelILj256ENS1_10for_each_fINS0_7pointerINS0_5tupleIbffNS0_9null_typeES7_S7_S7_S7_S7_S7_EENS1_3tagENS0_11use_defaultESA_EENS0_6detail16wrapped_functionINSC_23allocator_traits_detail24construct1_via_allocatorINSC_18no_throw_allocatorINSC_19temporary_allocatorIS8_S9_EEEEEEvEEEEmLj1EEEvT0_T1_SO_: ; @_ZN6thrust23THRUST_200600_302600_NS11hip_rocprim14__parallel_for6kernelILj256ENS1_10for_each_fINS0_7pointerINS0_5tupleIbffNS0_9null_typeES7_S7_S7_S7_S7_S7_EENS1_3tagENS0_11use_defaultESA_EENS0_6detail16wrapped_functionINSC_23allocator_traits_detail24construct1_via_allocatorINSC_18no_throw_allocatorINSC_19temporary_allocatorIS8_S9_EEEEEEvEEEEmLj1EEEvT0_T1_SO_
; %bb.0:
	s_load_b128 s[4:7], s[0:1], 0x10
	s_bfe_u32 s2, ttmp6, 0x4000c
	s_and_b32 s3, ttmp6, 15
	s_add_co_i32 s2, s2, 1
	s_getreg_b32 s8, hwreg(HW_REG_IB_STS2, 6, 4)
	s_mul_i32 s2, ttmp9, s2
	s_wait_xcnt 0x0
	s_load_b64 s[0:1], s[0:1], 0x0
	s_add_co_i32 s3, s3, s2
	s_cmp_eq_u32 s8, 0
	s_cselect_b32 s2, ttmp9, s3
	s_mov_b32 s3, 0
	s_lshl_b32 s2, s2, 8
	s_wait_kmcnt 0x0
	s_add_nc_u64 s[2:3], s[6:7], s[2:3]
	s_delay_alu instid0(SALU_CYCLE_1) | instskip(NEXT) | instid1(SALU_CYCLE_1)
	s_sub_nc_u64 s[4:5], s[4:5], s[2:3]
	v_cmp_lt_u64_e64 s5, 0xff, s[4:5]
	s_and_b32 vcc_lo, exec_lo, s5
	s_mov_b32 s5, -1
	s_cbranch_vccz .LBB37_3
; %bb.1:
	s_and_not1_b32 vcc_lo, exec_lo, s5
	s_cbranch_vccz .LBB37_6
.LBB37_2:
	s_endpgm
.LBB37_3:
	v_cmp_gt_u32_e32 vcc_lo, s4, v0
	s_and_saveexec_b32 s4, vcc_lo
	s_cbranch_execz .LBB37_5
; %bb.4:
	s_mul_u64 s[6:7], s[2:3], 12
	v_mov_b64_e32 v[4:5], 0
	s_add_nc_u64 s[6:7], s[0:1], s[6:7]
	v_mov_b32_e32 v1, 0
	v_mad_nc_u64_u32 v[2:3], v0, 12, s[6:7]
	s_clause 0x1
	flat_store_b8 v[2:3], v1
	flat_store_b64 v[2:3], v[4:5] offset:4
.LBB37_5:
	s_wait_xcnt 0x0
	s_or_b32 exec_lo, exec_lo, s4
	s_cbranch_execnz .LBB37_2
.LBB37_6:
	s_mul_u64 s[2:3], s[2:3], 12
	v_mov_b64_e32 v[2:3], 0
	s_add_nc_u64 s[0:1], s[0:1], s[2:3]
	v_mov_b32_e32 v4, 0
	v_mad_nc_u64_u32 v[0:1], v0, 12, s[0:1]
	s_clause 0x1
	flat_store_b8 v[0:1], v4
	flat_store_b64 v[0:1], v[2:3] offset:4
	s_endpgm
	.section	.rodata,"a",@progbits
	.p2align	6, 0x0
	.amdhsa_kernel _ZN6thrust23THRUST_200600_302600_NS11hip_rocprim14__parallel_for6kernelILj256ENS1_10for_each_fINS0_7pointerINS0_5tupleIbffNS0_9null_typeES7_S7_S7_S7_S7_S7_EENS1_3tagENS0_11use_defaultESA_EENS0_6detail16wrapped_functionINSC_23allocator_traits_detail24construct1_via_allocatorINSC_18no_throw_allocatorINSC_19temporary_allocatorIS8_S9_EEEEEEvEEEEmLj1EEEvT0_T1_SO_
		.amdhsa_group_segment_fixed_size 0
		.amdhsa_private_segment_fixed_size 0
		.amdhsa_kernarg_size 32
		.amdhsa_user_sgpr_count 2
		.amdhsa_user_sgpr_dispatch_ptr 0
		.amdhsa_user_sgpr_queue_ptr 0
		.amdhsa_user_sgpr_kernarg_segment_ptr 1
		.amdhsa_user_sgpr_dispatch_id 0
		.amdhsa_user_sgpr_kernarg_preload_length 0
		.amdhsa_user_sgpr_kernarg_preload_offset 0
		.amdhsa_user_sgpr_private_segment_size 0
		.amdhsa_wavefront_size32 1
		.amdhsa_uses_dynamic_stack 0
		.amdhsa_enable_private_segment 0
		.amdhsa_system_sgpr_workgroup_id_x 1
		.amdhsa_system_sgpr_workgroup_id_y 0
		.amdhsa_system_sgpr_workgroup_id_z 0
		.amdhsa_system_sgpr_workgroup_info 0
		.amdhsa_system_vgpr_workitem_id 0
		.amdhsa_next_free_vgpr 6
		.amdhsa_next_free_sgpr 9
		.amdhsa_named_barrier_count 0
		.amdhsa_reserve_vcc 1
		.amdhsa_float_round_mode_32 0
		.amdhsa_float_round_mode_16_64 0
		.amdhsa_float_denorm_mode_32 3
		.amdhsa_float_denorm_mode_16_64 3
		.amdhsa_fp16_overflow 0
		.amdhsa_memory_ordered 1
		.amdhsa_forward_progress 1
		.amdhsa_inst_pref_size 2
		.amdhsa_round_robin_scheduling 0
		.amdhsa_exception_fp_ieee_invalid_op 0
		.amdhsa_exception_fp_denorm_src 0
		.amdhsa_exception_fp_ieee_div_zero 0
		.amdhsa_exception_fp_ieee_overflow 0
		.amdhsa_exception_fp_ieee_underflow 0
		.amdhsa_exception_fp_ieee_inexact 0
		.amdhsa_exception_int_div_zero 0
	.end_amdhsa_kernel
	.section	.text._ZN6thrust23THRUST_200600_302600_NS11hip_rocprim14__parallel_for6kernelILj256ENS1_10for_each_fINS0_7pointerINS0_5tupleIbffNS0_9null_typeES7_S7_S7_S7_S7_S7_EENS1_3tagENS0_11use_defaultESA_EENS0_6detail16wrapped_functionINSC_23allocator_traits_detail24construct1_via_allocatorINSC_18no_throw_allocatorINSC_19temporary_allocatorIS8_S9_EEEEEEvEEEEmLj1EEEvT0_T1_SO_,"axG",@progbits,_ZN6thrust23THRUST_200600_302600_NS11hip_rocprim14__parallel_for6kernelILj256ENS1_10for_each_fINS0_7pointerINS0_5tupleIbffNS0_9null_typeES7_S7_S7_S7_S7_S7_EENS1_3tagENS0_11use_defaultESA_EENS0_6detail16wrapped_functionINSC_23allocator_traits_detail24construct1_via_allocatorINSC_18no_throw_allocatorINSC_19temporary_allocatorIS8_S9_EEEEEEvEEEEmLj1EEEvT0_T1_SO_,comdat
.Lfunc_end37:
	.size	_ZN6thrust23THRUST_200600_302600_NS11hip_rocprim14__parallel_for6kernelILj256ENS1_10for_each_fINS0_7pointerINS0_5tupleIbffNS0_9null_typeES7_S7_S7_S7_S7_S7_EENS1_3tagENS0_11use_defaultESA_EENS0_6detail16wrapped_functionINSC_23allocator_traits_detail24construct1_via_allocatorINSC_18no_throw_allocatorINSC_19temporary_allocatorIS8_S9_EEEEEEvEEEEmLj1EEEvT0_T1_SO_, .Lfunc_end37-_ZN6thrust23THRUST_200600_302600_NS11hip_rocprim14__parallel_for6kernelILj256ENS1_10for_each_fINS0_7pointerINS0_5tupleIbffNS0_9null_typeES7_S7_S7_S7_S7_S7_EENS1_3tagENS0_11use_defaultESA_EENS0_6detail16wrapped_functionINSC_23allocator_traits_detail24construct1_via_allocatorINSC_18no_throw_allocatorINSC_19temporary_allocatorIS8_S9_EEEEEEvEEEEmLj1EEEvT0_T1_SO_
                                        ; -- End function
	.set _ZN6thrust23THRUST_200600_302600_NS11hip_rocprim14__parallel_for6kernelILj256ENS1_10for_each_fINS0_7pointerINS0_5tupleIbffNS0_9null_typeES7_S7_S7_S7_S7_S7_EENS1_3tagENS0_11use_defaultESA_EENS0_6detail16wrapped_functionINSC_23allocator_traits_detail24construct1_via_allocatorINSC_18no_throw_allocatorINSC_19temporary_allocatorIS8_S9_EEEEEEvEEEEmLj1EEEvT0_T1_SO_.num_vgpr, 6
	.set _ZN6thrust23THRUST_200600_302600_NS11hip_rocprim14__parallel_for6kernelILj256ENS1_10for_each_fINS0_7pointerINS0_5tupleIbffNS0_9null_typeES7_S7_S7_S7_S7_S7_EENS1_3tagENS0_11use_defaultESA_EENS0_6detail16wrapped_functionINSC_23allocator_traits_detail24construct1_via_allocatorINSC_18no_throw_allocatorINSC_19temporary_allocatorIS8_S9_EEEEEEvEEEEmLj1EEEvT0_T1_SO_.num_agpr, 0
	.set _ZN6thrust23THRUST_200600_302600_NS11hip_rocprim14__parallel_for6kernelILj256ENS1_10for_each_fINS0_7pointerINS0_5tupleIbffNS0_9null_typeES7_S7_S7_S7_S7_S7_EENS1_3tagENS0_11use_defaultESA_EENS0_6detail16wrapped_functionINSC_23allocator_traits_detail24construct1_via_allocatorINSC_18no_throw_allocatorINSC_19temporary_allocatorIS8_S9_EEEEEEvEEEEmLj1EEEvT0_T1_SO_.numbered_sgpr, 9
	.set _ZN6thrust23THRUST_200600_302600_NS11hip_rocprim14__parallel_for6kernelILj256ENS1_10for_each_fINS0_7pointerINS0_5tupleIbffNS0_9null_typeES7_S7_S7_S7_S7_S7_EENS1_3tagENS0_11use_defaultESA_EENS0_6detail16wrapped_functionINSC_23allocator_traits_detail24construct1_via_allocatorINSC_18no_throw_allocatorINSC_19temporary_allocatorIS8_S9_EEEEEEvEEEEmLj1EEEvT0_T1_SO_.num_named_barrier, 0
	.set _ZN6thrust23THRUST_200600_302600_NS11hip_rocprim14__parallel_for6kernelILj256ENS1_10for_each_fINS0_7pointerINS0_5tupleIbffNS0_9null_typeES7_S7_S7_S7_S7_S7_EENS1_3tagENS0_11use_defaultESA_EENS0_6detail16wrapped_functionINSC_23allocator_traits_detail24construct1_via_allocatorINSC_18no_throw_allocatorINSC_19temporary_allocatorIS8_S9_EEEEEEvEEEEmLj1EEEvT0_T1_SO_.private_seg_size, 0
	.set _ZN6thrust23THRUST_200600_302600_NS11hip_rocprim14__parallel_for6kernelILj256ENS1_10for_each_fINS0_7pointerINS0_5tupleIbffNS0_9null_typeES7_S7_S7_S7_S7_S7_EENS1_3tagENS0_11use_defaultESA_EENS0_6detail16wrapped_functionINSC_23allocator_traits_detail24construct1_via_allocatorINSC_18no_throw_allocatorINSC_19temporary_allocatorIS8_S9_EEEEEEvEEEEmLj1EEEvT0_T1_SO_.uses_vcc, 1
	.set _ZN6thrust23THRUST_200600_302600_NS11hip_rocprim14__parallel_for6kernelILj256ENS1_10for_each_fINS0_7pointerINS0_5tupleIbffNS0_9null_typeES7_S7_S7_S7_S7_S7_EENS1_3tagENS0_11use_defaultESA_EENS0_6detail16wrapped_functionINSC_23allocator_traits_detail24construct1_via_allocatorINSC_18no_throw_allocatorINSC_19temporary_allocatorIS8_S9_EEEEEEvEEEEmLj1EEEvT0_T1_SO_.uses_flat_scratch, 1
	.set _ZN6thrust23THRUST_200600_302600_NS11hip_rocprim14__parallel_for6kernelILj256ENS1_10for_each_fINS0_7pointerINS0_5tupleIbffNS0_9null_typeES7_S7_S7_S7_S7_S7_EENS1_3tagENS0_11use_defaultESA_EENS0_6detail16wrapped_functionINSC_23allocator_traits_detail24construct1_via_allocatorINSC_18no_throw_allocatorINSC_19temporary_allocatorIS8_S9_EEEEEEvEEEEmLj1EEEvT0_T1_SO_.has_dyn_sized_stack, 0
	.set _ZN6thrust23THRUST_200600_302600_NS11hip_rocprim14__parallel_for6kernelILj256ENS1_10for_each_fINS0_7pointerINS0_5tupleIbffNS0_9null_typeES7_S7_S7_S7_S7_S7_EENS1_3tagENS0_11use_defaultESA_EENS0_6detail16wrapped_functionINSC_23allocator_traits_detail24construct1_via_allocatorINSC_18no_throw_allocatorINSC_19temporary_allocatorIS8_S9_EEEEEEvEEEEmLj1EEEvT0_T1_SO_.has_recursion, 0
	.set _ZN6thrust23THRUST_200600_302600_NS11hip_rocprim14__parallel_for6kernelILj256ENS1_10for_each_fINS0_7pointerINS0_5tupleIbffNS0_9null_typeES7_S7_S7_S7_S7_S7_EENS1_3tagENS0_11use_defaultESA_EENS0_6detail16wrapped_functionINSC_23allocator_traits_detail24construct1_via_allocatorINSC_18no_throw_allocatorINSC_19temporary_allocatorIS8_S9_EEEEEEvEEEEmLj1EEEvT0_T1_SO_.has_indirect_call, 0
	.section	.AMDGPU.csdata,"",@progbits
; Kernel info:
; codeLenInByte = 248
; TotalNumSgprs: 11
; NumVgprs: 6
; ScratchSize: 0
; MemoryBound: 0
; FloatMode: 240
; IeeeMode: 1
; LDSByteSize: 0 bytes/workgroup (compile time only)
; SGPRBlocks: 0
; VGPRBlocks: 0
; NumSGPRsForWavesPerEU: 11
; NumVGPRsForWavesPerEU: 6
; NamedBarCnt: 0
; Occupancy: 16
; WaveLimiterHint : 0
; COMPUTE_PGM_RSRC2:SCRATCH_EN: 0
; COMPUTE_PGM_RSRC2:USER_SGPR: 2
; COMPUTE_PGM_RSRC2:TRAP_HANDLER: 0
; COMPUTE_PGM_RSRC2:TGID_X_EN: 1
; COMPUTE_PGM_RSRC2:TGID_Y_EN: 0
; COMPUTE_PGM_RSRC2:TGID_Z_EN: 0
; COMPUTE_PGM_RSRC2:TIDIG_COMP_CNT: 0
	.section	.text._ZN6thrust23THRUST_200600_302600_NS11hip_rocprim14__parallel_for6kernelILj256ENS1_10for_each_fINS0_7pointerINS0_5tupleIbffNS0_9null_typeES7_S7_S7_S7_S7_S7_EENS1_3tagENS0_11use_defaultESA_EENS0_6detail16wrapped_functionINSC_23allocator_traits_detail5gozerEvEEEElLj1EEEvT0_T1_SJ_,"axG",@progbits,_ZN6thrust23THRUST_200600_302600_NS11hip_rocprim14__parallel_for6kernelILj256ENS1_10for_each_fINS0_7pointerINS0_5tupleIbffNS0_9null_typeES7_S7_S7_S7_S7_S7_EENS1_3tagENS0_11use_defaultESA_EENS0_6detail16wrapped_functionINSC_23allocator_traits_detail5gozerEvEEEElLj1EEEvT0_T1_SJ_,comdat
	.protected	_ZN6thrust23THRUST_200600_302600_NS11hip_rocprim14__parallel_for6kernelILj256ENS1_10for_each_fINS0_7pointerINS0_5tupleIbffNS0_9null_typeES7_S7_S7_S7_S7_S7_EENS1_3tagENS0_11use_defaultESA_EENS0_6detail16wrapped_functionINSC_23allocator_traits_detail5gozerEvEEEElLj1EEEvT0_T1_SJ_ ; -- Begin function _ZN6thrust23THRUST_200600_302600_NS11hip_rocprim14__parallel_for6kernelILj256ENS1_10for_each_fINS0_7pointerINS0_5tupleIbffNS0_9null_typeES7_S7_S7_S7_S7_S7_EENS1_3tagENS0_11use_defaultESA_EENS0_6detail16wrapped_functionINSC_23allocator_traits_detail5gozerEvEEEElLj1EEEvT0_T1_SJ_
	.globl	_ZN6thrust23THRUST_200600_302600_NS11hip_rocprim14__parallel_for6kernelILj256ENS1_10for_each_fINS0_7pointerINS0_5tupleIbffNS0_9null_typeES7_S7_S7_S7_S7_S7_EENS1_3tagENS0_11use_defaultESA_EENS0_6detail16wrapped_functionINSC_23allocator_traits_detail5gozerEvEEEElLj1EEEvT0_T1_SJ_
	.p2align	8
	.type	_ZN6thrust23THRUST_200600_302600_NS11hip_rocprim14__parallel_for6kernelILj256ENS1_10for_each_fINS0_7pointerINS0_5tupleIbffNS0_9null_typeES7_S7_S7_S7_S7_S7_EENS1_3tagENS0_11use_defaultESA_EENS0_6detail16wrapped_functionINSC_23allocator_traits_detail5gozerEvEEEElLj1EEEvT0_T1_SJ_,@function
_ZN6thrust23THRUST_200600_302600_NS11hip_rocprim14__parallel_for6kernelILj256ENS1_10for_each_fINS0_7pointerINS0_5tupleIbffNS0_9null_typeES7_S7_S7_S7_S7_S7_EENS1_3tagENS0_11use_defaultESA_EENS0_6detail16wrapped_functionINSC_23allocator_traits_detail5gozerEvEEEElLj1EEEvT0_T1_SJ_: ; @_ZN6thrust23THRUST_200600_302600_NS11hip_rocprim14__parallel_for6kernelILj256ENS1_10for_each_fINS0_7pointerINS0_5tupleIbffNS0_9null_typeES7_S7_S7_S7_S7_S7_EENS1_3tagENS0_11use_defaultESA_EENS0_6detail16wrapped_functionINSC_23allocator_traits_detail5gozerEvEEEElLj1EEEvT0_T1_SJ_
; %bb.0:
	s_endpgm
	.section	.rodata,"a",@progbits
	.p2align	6, 0x0
	.amdhsa_kernel _ZN6thrust23THRUST_200600_302600_NS11hip_rocprim14__parallel_for6kernelILj256ENS1_10for_each_fINS0_7pointerINS0_5tupleIbffNS0_9null_typeES7_S7_S7_S7_S7_S7_EENS1_3tagENS0_11use_defaultESA_EENS0_6detail16wrapped_functionINSC_23allocator_traits_detail5gozerEvEEEElLj1EEEvT0_T1_SJ_
		.amdhsa_group_segment_fixed_size 0
		.amdhsa_private_segment_fixed_size 0
		.amdhsa_kernarg_size 32
		.amdhsa_user_sgpr_count 2
		.amdhsa_user_sgpr_dispatch_ptr 0
		.amdhsa_user_sgpr_queue_ptr 0
		.amdhsa_user_sgpr_kernarg_segment_ptr 1
		.amdhsa_user_sgpr_dispatch_id 0
		.amdhsa_user_sgpr_kernarg_preload_length 0
		.amdhsa_user_sgpr_kernarg_preload_offset 0
		.amdhsa_user_sgpr_private_segment_size 0
		.amdhsa_wavefront_size32 1
		.amdhsa_uses_dynamic_stack 0
		.amdhsa_enable_private_segment 0
		.amdhsa_system_sgpr_workgroup_id_x 1
		.amdhsa_system_sgpr_workgroup_id_y 0
		.amdhsa_system_sgpr_workgroup_id_z 0
		.amdhsa_system_sgpr_workgroup_info 0
		.amdhsa_system_vgpr_workitem_id 0
		.amdhsa_next_free_vgpr 1
		.amdhsa_next_free_sgpr 1
		.amdhsa_named_barrier_count 0
		.amdhsa_reserve_vcc 0
		.amdhsa_float_round_mode_32 0
		.amdhsa_float_round_mode_16_64 0
		.amdhsa_float_denorm_mode_32 3
		.amdhsa_float_denorm_mode_16_64 3
		.amdhsa_fp16_overflow 0
		.amdhsa_memory_ordered 1
		.amdhsa_forward_progress 1
		.amdhsa_inst_pref_size 1
		.amdhsa_round_robin_scheduling 0
		.amdhsa_exception_fp_ieee_invalid_op 0
		.amdhsa_exception_fp_denorm_src 0
		.amdhsa_exception_fp_ieee_div_zero 0
		.amdhsa_exception_fp_ieee_overflow 0
		.amdhsa_exception_fp_ieee_underflow 0
		.amdhsa_exception_fp_ieee_inexact 0
		.amdhsa_exception_int_div_zero 0
	.end_amdhsa_kernel
	.section	.text._ZN6thrust23THRUST_200600_302600_NS11hip_rocprim14__parallel_for6kernelILj256ENS1_10for_each_fINS0_7pointerINS0_5tupleIbffNS0_9null_typeES7_S7_S7_S7_S7_S7_EENS1_3tagENS0_11use_defaultESA_EENS0_6detail16wrapped_functionINSC_23allocator_traits_detail5gozerEvEEEElLj1EEEvT0_T1_SJ_,"axG",@progbits,_ZN6thrust23THRUST_200600_302600_NS11hip_rocprim14__parallel_for6kernelILj256ENS1_10for_each_fINS0_7pointerINS0_5tupleIbffNS0_9null_typeES7_S7_S7_S7_S7_S7_EENS1_3tagENS0_11use_defaultESA_EENS0_6detail16wrapped_functionINSC_23allocator_traits_detail5gozerEvEEEElLj1EEEvT0_T1_SJ_,comdat
.Lfunc_end38:
	.size	_ZN6thrust23THRUST_200600_302600_NS11hip_rocprim14__parallel_for6kernelILj256ENS1_10for_each_fINS0_7pointerINS0_5tupleIbffNS0_9null_typeES7_S7_S7_S7_S7_S7_EENS1_3tagENS0_11use_defaultESA_EENS0_6detail16wrapped_functionINSC_23allocator_traits_detail5gozerEvEEEElLj1EEEvT0_T1_SJ_, .Lfunc_end38-_ZN6thrust23THRUST_200600_302600_NS11hip_rocprim14__parallel_for6kernelILj256ENS1_10for_each_fINS0_7pointerINS0_5tupleIbffNS0_9null_typeES7_S7_S7_S7_S7_S7_EENS1_3tagENS0_11use_defaultESA_EENS0_6detail16wrapped_functionINSC_23allocator_traits_detail5gozerEvEEEElLj1EEEvT0_T1_SJ_
                                        ; -- End function
	.set _ZN6thrust23THRUST_200600_302600_NS11hip_rocprim14__parallel_for6kernelILj256ENS1_10for_each_fINS0_7pointerINS0_5tupleIbffNS0_9null_typeES7_S7_S7_S7_S7_S7_EENS1_3tagENS0_11use_defaultESA_EENS0_6detail16wrapped_functionINSC_23allocator_traits_detail5gozerEvEEEElLj1EEEvT0_T1_SJ_.num_vgpr, 0
	.set _ZN6thrust23THRUST_200600_302600_NS11hip_rocprim14__parallel_for6kernelILj256ENS1_10for_each_fINS0_7pointerINS0_5tupleIbffNS0_9null_typeES7_S7_S7_S7_S7_S7_EENS1_3tagENS0_11use_defaultESA_EENS0_6detail16wrapped_functionINSC_23allocator_traits_detail5gozerEvEEEElLj1EEEvT0_T1_SJ_.num_agpr, 0
	.set _ZN6thrust23THRUST_200600_302600_NS11hip_rocprim14__parallel_for6kernelILj256ENS1_10for_each_fINS0_7pointerINS0_5tupleIbffNS0_9null_typeES7_S7_S7_S7_S7_S7_EENS1_3tagENS0_11use_defaultESA_EENS0_6detail16wrapped_functionINSC_23allocator_traits_detail5gozerEvEEEElLj1EEEvT0_T1_SJ_.numbered_sgpr, 0
	.set _ZN6thrust23THRUST_200600_302600_NS11hip_rocprim14__parallel_for6kernelILj256ENS1_10for_each_fINS0_7pointerINS0_5tupleIbffNS0_9null_typeES7_S7_S7_S7_S7_S7_EENS1_3tagENS0_11use_defaultESA_EENS0_6detail16wrapped_functionINSC_23allocator_traits_detail5gozerEvEEEElLj1EEEvT0_T1_SJ_.num_named_barrier, 0
	.set _ZN6thrust23THRUST_200600_302600_NS11hip_rocprim14__parallel_for6kernelILj256ENS1_10for_each_fINS0_7pointerINS0_5tupleIbffNS0_9null_typeES7_S7_S7_S7_S7_S7_EENS1_3tagENS0_11use_defaultESA_EENS0_6detail16wrapped_functionINSC_23allocator_traits_detail5gozerEvEEEElLj1EEEvT0_T1_SJ_.private_seg_size, 0
	.set _ZN6thrust23THRUST_200600_302600_NS11hip_rocprim14__parallel_for6kernelILj256ENS1_10for_each_fINS0_7pointerINS0_5tupleIbffNS0_9null_typeES7_S7_S7_S7_S7_S7_EENS1_3tagENS0_11use_defaultESA_EENS0_6detail16wrapped_functionINSC_23allocator_traits_detail5gozerEvEEEElLj1EEEvT0_T1_SJ_.uses_vcc, 0
	.set _ZN6thrust23THRUST_200600_302600_NS11hip_rocprim14__parallel_for6kernelILj256ENS1_10for_each_fINS0_7pointerINS0_5tupleIbffNS0_9null_typeES7_S7_S7_S7_S7_S7_EENS1_3tagENS0_11use_defaultESA_EENS0_6detail16wrapped_functionINSC_23allocator_traits_detail5gozerEvEEEElLj1EEEvT0_T1_SJ_.uses_flat_scratch, 0
	.set _ZN6thrust23THRUST_200600_302600_NS11hip_rocprim14__parallel_for6kernelILj256ENS1_10for_each_fINS0_7pointerINS0_5tupleIbffNS0_9null_typeES7_S7_S7_S7_S7_S7_EENS1_3tagENS0_11use_defaultESA_EENS0_6detail16wrapped_functionINSC_23allocator_traits_detail5gozerEvEEEElLj1EEEvT0_T1_SJ_.has_dyn_sized_stack, 0
	.set _ZN6thrust23THRUST_200600_302600_NS11hip_rocprim14__parallel_for6kernelILj256ENS1_10for_each_fINS0_7pointerINS0_5tupleIbffNS0_9null_typeES7_S7_S7_S7_S7_S7_EENS1_3tagENS0_11use_defaultESA_EENS0_6detail16wrapped_functionINSC_23allocator_traits_detail5gozerEvEEEElLj1EEEvT0_T1_SJ_.has_recursion, 0
	.set _ZN6thrust23THRUST_200600_302600_NS11hip_rocprim14__parallel_for6kernelILj256ENS1_10for_each_fINS0_7pointerINS0_5tupleIbffNS0_9null_typeES7_S7_S7_S7_S7_S7_EENS1_3tagENS0_11use_defaultESA_EENS0_6detail16wrapped_functionINSC_23allocator_traits_detail5gozerEvEEEElLj1EEEvT0_T1_SJ_.has_indirect_call, 0
	.section	.AMDGPU.csdata,"",@progbits
; Kernel info:
; codeLenInByte = 4
; TotalNumSgprs: 0
; NumVgprs: 0
; ScratchSize: 0
; MemoryBound: 0
; FloatMode: 240
; IeeeMode: 1
; LDSByteSize: 0 bytes/workgroup (compile time only)
; SGPRBlocks: 0
; VGPRBlocks: 0
; NumSGPRsForWavesPerEU: 1
; NumVGPRsForWavesPerEU: 1
; NamedBarCnt: 0
; Occupancy: 16
; WaveLimiterHint : 0
; COMPUTE_PGM_RSRC2:SCRATCH_EN: 0
; COMPUTE_PGM_RSRC2:USER_SGPR: 2
; COMPUTE_PGM_RSRC2:TRAP_HANDLER: 0
; COMPUTE_PGM_RSRC2:TGID_X_EN: 1
; COMPUTE_PGM_RSRC2:TGID_Y_EN: 0
; COMPUTE_PGM_RSRC2:TGID_Z_EN: 0
; COMPUTE_PGM_RSRC2:TIDIG_COMP_CNT: 0
	.section	.text._ZN6thrust23THRUST_200600_302600_NS11hip_rocprim14__parallel_for6kernelILj256ENS1_20__uninitialized_copy7functorIPNS0_5tupleIbffNS0_9null_typeES7_S7_S7_S7_S7_S7_EENS0_7pointerIS8_NS1_3tagENS0_11use_defaultESC_EEEEmLj1EEEvT0_T1_SG_,"axG",@progbits,_ZN6thrust23THRUST_200600_302600_NS11hip_rocprim14__parallel_for6kernelILj256ENS1_20__uninitialized_copy7functorIPNS0_5tupleIbffNS0_9null_typeES7_S7_S7_S7_S7_S7_EENS0_7pointerIS8_NS1_3tagENS0_11use_defaultESC_EEEEmLj1EEEvT0_T1_SG_,comdat
	.protected	_ZN6thrust23THRUST_200600_302600_NS11hip_rocprim14__parallel_for6kernelILj256ENS1_20__uninitialized_copy7functorIPNS0_5tupleIbffNS0_9null_typeES7_S7_S7_S7_S7_S7_EENS0_7pointerIS8_NS1_3tagENS0_11use_defaultESC_EEEEmLj1EEEvT0_T1_SG_ ; -- Begin function _ZN6thrust23THRUST_200600_302600_NS11hip_rocprim14__parallel_for6kernelILj256ENS1_20__uninitialized_copy7functorIPNS0_5tupleIbffNS0_9null_typeES7_S7_S7_S7_S7_S7_EENS0_7pointerIS8_NS1_3tagENS0_11use_defaultESC_EEEEmLj1EEEvT0_T1_SG_
	.globl	_ZN6thrust23THRUST_200600_302600_NS11hip_rocprim14__parallel_for6kernelILj256ENS1_20__uninitialized_copy7functorIPNS0_5tupleIbffNS0_9null_typeES7_S7_S7_S7_S7_S7_EENS0_7pointerIS8_NS1_3tagENS0_11use_defaultESC_EEEEmLj1EEEvT0_T1_SG_
	.p2align	8
	.type	_ZN6thrust23THRUST_200600_302600_NS11hip_rocprim14__parallel_for6kernelILj256ENS1_20__uninitialized_copy7functorIPNS0_5tupleIbffNS0_9null_typeES7_S7_S7_S7_S7_S7_EENS0_7pointerIS8_NS1_3tagENS0_11use_defaultESC_EEEEmLj1EEEvT0_T1_SG_,@function
_ZN6thrust23THRUST_200600_302600_NS11hip_rocprim14__parallel_for6kernelILj256ENS1_20__uninitialized_copy7functorIPNS0_5tupleIbffNS0_9null_typeES7_S7_S7_S7_S7_S7_EENS0_7pointerIS8_NS1_3tagENS0_11use_defaultESC_EEEEmLj1EEEvT0_T1_SG_: ; @_ZN6thrust23THRUST_200600_302600_NS11hip_rocprim14__parallel_for6kernelILj256ENS1_20__uninitialized_copy7functorIPNS0_5tupleIbffNS0_9null_typeES7_S7_S7_S7_S7_S7_EENS0_7pointerIS8_NS1_3tagENS0_11use_defaultESC_EEEEmLj1EEEvT0_T1_SG_
; %bb.0:
	s_load_b256 s[4:11], s[0:1], 0x0
	s_wait_xcnt 0x0
	s_bfe_u32 s0, ttmp6, 0x4000c
	s_and_b32 s1, ttmp6, 15
	s_add_co_i32 s0, s0, 1
	s_getreg_b32 s2, hwreg(HW_REG_IB_STS2, 6, 4)
	s_mul_i32 s0, ttmp9, s0
	s_mov_b32 s3, 0
	s_add_co_i32 s1, s1, s0
	s_cmp_eq_u32 s2, 0
	s_cselect_b32 s0, ttmp9, s1
	s_delay_alu instid0(SALU_CYCLE_1) | instskip(SKIP_2) | instid1(SALU_CYCLE_1)
	s_lshl_b32 s2, s0, 8
	s_wait_kmcnt 0x0
	s_add_nc_u64 s[0:1], s[10:11], s[2:3]
	s_sub_nc_u64 s[8:9], s[8:9], s[0:1]
	s_delay_alu instid0(SALU_CYCLE_1)
	v_cmp_lt_u64_e64 s2, 0xff, s[8:9]
	s_and_b32 vcc_lo, exec_lo, s2
	s_mov_b32 s2, -1
	s_cbranch_vccz .LBB39_4
; %bb.1:
	s_and_not1_b32 vcc_lo, exec_lo, s2
	s_cbranch_vccz .LBB39_5
.LBB39_2:
	s_and_saveexec_b32 s2, s3
	s_cbranch_execnz .LBB39_6
.LBB39_3:
	s_endpgm
.LBB39_4:
	v_cmp_gt_u32_e32 vcc_lo, s8, v0
	s_and_b32 s3, vcc_lo, exec_lo
	s_cbranch_execnz .LBB39_2
.LBB39_5:
	s_or_b32 s3, s3, exec_lo
	s_delay_alu instid0(SALU_CYCLE_1)
	s_and_saveexec_b32 s2, s3
	s_cbranch_execz .LBB39_3
.LBB39_6:
	v_mov_b32_e32 v1, 0
	s_delay_alu instid0(VALU_DEP_1) | instskip(NEXT) | instid1(VALU_DEP_1)
	v_add_nc_u64_e32 v[4:5], s[0:1], v[0:1]
	v_mad_nc_u64_u32 v[0:1], v4, 12, s[4:5]
	s_delay_alu instid0(VALU_DEP_2) | instskip(SKIP_1) | instid1(VALU_DEP_2)
	v_mul_lo_u32 v3, v5, 12
	v_mad_nc_u64_u32 v[4:5], v4, 12, s[6:7]
	v_add_nc_u32_e32 v1, v3, v1
	s_delay_alu instid0(VALU_DEP_2)
	v_add_nc_u32_e32 v5, v3, v5
	global_load_b96 v[0:2], v[0:1], off
	s_wait_loadcnt 0x0
	flat_store_b96 v[4:5], v[0:2]
	s_endpgm
	.section	.rodata,"a",@progbits
	.p2align	6, 0x0
	.amdhsa_kernel _ZN6thrust23THRUST_200600_302600_NS11hip_rocprim14__parallel_for6kernelILj256ENS1_20__uninitialized_copy7functorIPNS0_5tupleIbffNS0_9null_typeES7_S7_S7_S7_S7_S7_EENS0_7pointerIS8_NS1_3tagENS0_11use_defaultESC_EEEEmLj1EEEvT0_T1_SG_
		.amdhsa_group_segment_fixed_size 0
		.amdhsa_private_segment_fixed_size 0
		.amdhsa_kernarg_size 32
		.amdhsa_user_sgpr_count 2
		.amdhsa_user_sgpr_dispatch_ptr 0
		.amdhsa_user_sgpr_queue_ptr 0
		.amdhsa_user_sgpr_kernarg_segment_ptr 1
		.amdhsa_user_sgpr_dispatch_id 0
		.amdhsa_user_sgpr_kernarg_preload_length 0
		.amdhsa_user_sgpr_kernarg_preload_offset 0
		.amdhsa_user_sgpr_private_segment_size 0
		.amdhsa_wavefront_size32 1
		.amdhsa_uses_dynamic_stack 0
		.amdhsa_enable_private_segment 0
		.amdhsa_system_sgpr_workgroup_id_x 1
		.amdhsa_system_sgpr_workgroup_id_y 0
		.amdhsa_system_sgpr_workgroup_id_z 0
		.amdhsa_system_sgpr_workgroup_info 0
		.amdhsa_system_vgpr_workitem_id 0
		.amdhsa_next_free_vgpr 6
		.amdhsa_next_free_sgpr 12
		.amdhsa_named_barrier_count 0
		.amdhsa_reserve_vcc 1
		.amdhsa_float_round_mode_32 0
		.amdhsa_float_round_mode_16_64 0
		.amdhsa_float_denorm_mode_32 3
		.amdhsa_float_denorm_mode_16_64 3
		.amdhsa_fp16_overflow 0
		.amdhsa_memory_ordered 1
		.amdhsa_forward_progress 1
		.amdhsa_inst_pref_size 2
		.amdhsa_round_robin_scheduling 0
		.amdhsa_exception_fp_ieee_invalid_op 0
		.amdhsa_exception_fp_denorm_src 0
		.amdhsa_exception_fp_ieee_div_zero 0
		.amdhsa_exception_fp_ieee_overflow 0
		.amdhsa_exception_fp_ieee_underflow 0
		.amdhsa_exception_fp_ieee_inexact 0
		.amdhsa_exception_int_div_zero 0
	.end_amdhsa_kernel
	.section	.text._ZN6thrust23THRUST_200600_302600_NS11hip_rocprim14__parallel_for6kernelILj256ENS1_20__uninitialized_copy7functorIPNS0_5tupleIbffNS0_9null_typeES7_S7_S7_S7_S7_S7_EENS0_7pointerIS8_NS1_3tagENS0_11use_defaultESC_EEEEmLj1EEEvT0_T1_SG_,"axG",@progbits,_ZN6thrust23THRUST_200600_302600_NS11hip_rocprim14__parallel_for6kernelILj256ENS1_20__uninitialized_copy7functorIPNS0_5tupleIbffNS0_9null_typeES7_S7_S7_S7_S7_S7_EENS0_7pointerIS8_NS1_3tagENS0_11use_defaultESC_EEEEmLj1EEEvT0_T1_SG_,comdat
.Lfunc_end39:
	.size	_ZN6thrust23THRUST_200600_302600_NS11hip_rocprim14__parallel_for6kernelILj256ENS1_20__uninitialized_copy7functorIPNS0_5tupleIbffNS0_9null_typeES7_S7_S7_S7_S7_S7_EENS0_7pointerIS8_NS1_3tagENS0_11use_defaultESC_EEEEmLj1EEEvT0_T1_SG_, .Lfunc_end39-_ZN6thrust23THRUST_200600_302600_NS11hip_rocprim14__parallel_for6kernelILj256ENS1_20__uninitialized_copy7functorIPNS0_5tupleIbffNS0_9null_typeES7_S7_S7_S7_S7_S7_EENS0_7pointerIS8_NS1_3tagENS0_11use_defaultESC_EEEEmLj1EEEvT0_T1_SG_
                                        ; -- End function
	.set _ZN6thrust23THRUST_200600_302600_NS11hip_rocprim14__parallel_for6kernelILj256ENS1_20__uninitialized_copy7functorIPNS0_5tupleIbffNS0_9null_typeES7_S7_S7_S7_S7_S7_EENS0_7pointerIS8_NS1_3tagENS0_11use_defaultESC_EEEEmLj1EEEvT0_T1_SG_.num_vgpr, 6
	.set _ZN6thrust23THRUST_200600_302600_NS11hip_rocprim14__parallel_for6kernelILj256ENS1_20__uninitialized_copy7functorIPNS0_5tupleIbffNS0_9null_typeES7_S7_S7_S7_S7_S7_EENS0_7pointerIS8_NS1_3tagENS0_11use_defaultESC_EEEEmLj1EEEvT0_T1_SG_.num_agpr, 0
	.set _ZN6thrust23THRUST_200600_302600_NS11hip_rocprim14__parallel_for6kernelILj256ENS1_20__uninitialized_copy7functorIPNS0_5tupleIbffNS0_9null_typeES7_S7_S7_S7_S7_S7_EENS0_7pointerIS8_NS1_3tagENS0_11use_defaultESC_EEEEmLj1EEEvT0_T1_SG_.numbered_sgpr, 12
	.set _ZN6thrust23THRUST_200600_302600_NS11hip_rocprim14__parallel_for6kernelILj256ENS1_20__uninitialized_copy7functorIPNS0_5tupleIbffNS0_9null_typeES7_S7_S7_S7_S7_S7_EENS0_7pointerIS8_NS1_3tagENS0_11use_defaultESC_EEEEmLj1EEEvT0_T1_SG_.num_named_barrier, 0
	.set _ZN6thrust23THRUST_200600_302600_NS11hip_rocprim14__parallel_for6kernelILj256ENS1_20__uninitialized_copy7functorIPNS0_5tupleIbffNS0_9null_typeES7_S7_S7_S7_S7_S7_EENS0_7pointerIS8_NS1_3tagENS0_11use_defaultESC_EEEEmLj1EEEvT0_T1_SG_.private_seg_size, 0
	.set _ZN6thrust23THRUST_200600_302600_NS11hip_rocprim14__parallel_for6kernelILj256ENS1_20__uninitialized_copy7functorIPNS0_5tupleIbffNS0_9null_typeES7_S7_S7_S7_S7_S7_EENS0_7pointerIS8_NS1_3tagENS0_11use_defaultESC_EEEEmLj1EEEvT0_T1_SG_.uses_vcc, 1
	.set _ZN6thrust23THRUST_200600_302600_NS11hip_rocprim14__parallel_for6kernelILj256ENS1_20__uninitialized_copy7functorIPNS0_5tupleIbffNS0_9null_typeES7_S7_S7_S7_S7_S7_EENS0_7pointerIS8_NS1_3tagENS0_11use_defaultESC_EEEEmLj1EEEvT0_T1_SG_.uses_flat_scratch, 0
	.set _ZN6thrust23THRUST_200600_302600_NS11hip_rocprim14__parallel_for6kernelILj256ENS1_20__uninitialized_copy7functorIPNS0_5tupleIbffNS0_9null_typeES7_S7_S7_S7_S7_S7_EENS0_7pointerIS8_NS1_3tagENS0_11use_defaultESC_EEEEmLj1EEEvT0_T1_SG_.has_dyn_sized_stack, 0
	.set _ZN6thrust23THRUST_200600_302600_NS11hip_rocprim14__parallel_for6kernelILj256ENS1_20__uninitialized_copy7functorIPNS0_5tupleIbffNS0_9null_typeES7_S7_S7_S7_S7_S7_EENS0_7pointerIS8_NS1_3tagENS0_11use_defaultESC_EEEEmLj1EEEvT0_T1_SG_.has_recursion, 0
	.set _ZN6thrust23THRUST_200600_302600_NS11hip_rocprim14__parallel_for6kernelILj256ENS1_20__uninitialized_copy7functorIPNS0_5tupleIbffNS0_9null_typeES7_S7_S7_S7_S7_S7_EENS0_7pointerIS8_NS1_3tagENS0_11use_defaultESC_EEEEmLj1EEEvT0_T1_SG_.has_indirect_call, 0
	.section	.AMDGPU.csdata,"",@progbits
; Kernel info:
; codeLenInByte = 232
; TotalNumSgprs: 14
; NumVgprs: 6
; ScratchSize: 0
; MemoryBound: 0
; FloatMode: 240
; IeeeMode: 1
; LDSByteSize: 0 bytes/workgroup (compile time only)
; SGPRBlocks: 0
; VGPRBlocks: 0
; NumSGPRsForWavesPerEU: 14
; NumVGPRsForWavesPerEU: 6
; NamedBarCnt: 0
; Occupancy: 16
; WaveLimiterHint : 0
; COMPUTE_PGM_RSRC2:SCRATCH_EN: 0
; COMPUTE_PGM_RSRC2:USER_SGPR: 2
; COMPUTE_PGM_RSRC2:TRAP_HANDLER: 0
; COMPUTE_PGM_RSRC2:TGID_X_EN: 1
; COMPUTE_PGM_RSRC2:TGID_Y_EN: 0
; COMPUTE_PGM_RSRC2:TGID_Z_EN: 0
; COMPUTE_PGM_RSRC2:TIDIG_COMP_CNT: 0
	.section	.AMDGPU.gpr_maximums,"",@progbits
	.set amdgpu.max_num_vgpr, 0
	.set amdgpu.max_num_agpr, 0
	.set amdgpu.max_num_sgpr, 0
	.section	.AMDGPU.csdata,"",@progbits
	.type	__hip_cuid_cd46177217cb43ca,@object ; @__hip_cuid_cd46177217cb43ca
	.section	.bss,"aw",@nobits
	.globl	__hip_cuid_cd46177217cb43ca
__hip_cuid_cd46177217cb43ca:
	.byte	0                               ; 0x0
	.size	__hip_cuid_cd46177217cb43ca, 1

	.ident	"AMD clang version 22.0.0git (https://github.com/RadeonOpenCompute/llvm-project roc-7.2.4 26084 f58b06dce1f9c15707c5f808fd002e18c2accf7e)"
	.section	".note.GNU-stack","",@progbits
	.addrsig
	.addrsig_sym __hip_cuid_cd46177217cb43ca
	.amdgpu_metadata
---
amdhsa.kernels:
  - .args:
      - .offset:         0
        .size:           16
        .value_kind:     by_value
      - .offset:         16
        .size:           8
        .value_kind:     by_value
      - .offset:         24
        .size:           8
        .value_kind:     by_value
    .group_segment_fixed_size: 0
    .kernarg_segment_align: 8
    .kernarg_segment_size: 32
    .language:       OpenCL C
    .language_version:
      - 2
      - 0
    .max_flat_workgroup_size: 256
    .name:           _ZN6thrust23THRUST_200600_302600_NS11hip_rocprim14__parallel_for6kernelILj256ENS1_20__uninitialized_fill7functorINS0_10device_ptrIfEEfEEmLj1EEEvT0_T1_SA_
    .private_segment_fixed_size: 0
    .sgpr_count:     14
    .sgpr_spill_count: 0
    .symbol:         _ZN6thrust23THRUST_200600_302600_NS11hip_rocprim14__parallel_for6kernelILj256ENS1_20__uninitialized_fill7functorINS0_10device_ptrIfEEfEEmLj1EEEvT0_T1_SA_.kd
    .uniform_work_group_size: 1
    .uses_dynamic_stack: false
    .vgpr_count:     2
    .vgpr_spill_count: 0
    .wavefront_size: 32
  - .args:
      - .offset:         0
        .size:           64
        .value_kind:     by_value
    .group_segment_fixed_size: 96
    .kernarg_segment_align: 8
    .kernarg_segment_size: 64
    .language:       OpenCL C
    .language_version:
      - 2
      - 0
    .max_flat_workgroup_size: 128
    .name:           _ZN7rocprim17ROCPRIM_400000_NS6detail17trampoline_kernelINS0_14default_configENS1_22reduce_config_selectorIN6thrust23THRUST_200600_302600_NS5tupleIbffNS6_9null_typeES8_S8_S8_S8_S8_S8_EEEEZNS1_11reduce_implILb1ES3_PS9_SC_S9_12reduce_tupleIifEEE10hipError_tPvRmT1_T2_T3_mT4_P12ihipStream_tbEUlT_E0_NS1_11comp_targetILNS1_3genE0ELNS1_11target_archE4294967295ELNS1_3gpuE0ELNS1_3repE0EEENS1_30default_config_static_selectorELNS0_4arch9wavefront6targetE0EEEvSI_
    .private_segment_fixed_size: 0
    .sgpr_count:     22
    .sgpr_spill_count: 0
    .symbol:         _ZN7rocprim17ROCPRIM_400000_NS6detail17trampoline_kernelINS0_14default_configENS1_22reduce_config_selectorIN6thrust23THRUST_200600_302600_NS5tupleIbffNS6_9null_typeES8_S8_S8_S8_S8_S8_EEEEZNS1_11reduce_implILb1ES3_PS9_SC_S9_12reduce_tupleIifEEE10hipError_tPvRmT1_T2_T3_mT4_P12ihipStream_tbEUlT_E0_NS1_11comp_targetILNS1_3genE0ELNS1_11target_archE4294967295ELNS1_3gpuE0ELNS1_3repE0EEENS1_30default_config_static_selectorELNS0_4arch9wavefront6targetE0EEEvSI_.kd
    .uniform_work_group_size: 1
    .uses_dynamic_stack: false
    .vgpr_count:     12
    .vgpr_spill_count: 0
    .wavefront_size: 32
  - .args:
      - .offset:         0
        .size:           64
        .value_kind:     by_value
    .group_segment_fixed_size: 0
    .kernarg_segment_align: 8
    .kernarg_segment_size: 64
    .language:       OpenCL C
    .language_version:
      - 2
      - 0
    .max_flat_workgroup_size: 256
    .name:           _ZN7rocprim17ROCPRIM_400000_NS6detail17trampoline_kernelINS0_14default_configENS1_22reduce_config_selectorIN6thrust23THRUST_200600_302600_NS5tupleIbffNS6_9null_typeES8_S8_S8_S8_S8_S8_EEEEZNS1_11reduce_implILb1ES3_PS9_SC_S9_12reduce_tupleIifEEE10hipError_tPvRmT1_T2_T3_mT4_P12ihipStream_tbEUlT_E0_NS1_11comp_targetILNS1_3genE5ELNS1_11target_archE942ELNS1_3gpuE9ELNS1_3repE0EEENS1_30default_config_static_selectorELNS0_4arch9wavefront6targetE0EEEvSI_
    .private_segment_fixed_size: 0
    .sgpr_count:     0
    .sgpr_spill_count: 0
    .symbol:         _ZN7rocprim17ROCPRIM_400000_NS6detail17trampoline_kernelINS0_14default_configENS1_22reduce_config_selectorIN6thrust23THRUST_200600_302600_NS5tupleIbffNS6_9null_typeES8_S8_S8_S8_S8_S8_EEEEZNS1_11reduce_implILb1ES3_PS9_SC_S9_12reduce_tupleIifEEE10hipError_tPvRmT1_T2_T3_mT4_P12ihipStream_tbEUlT_E0_NS1_11comp_targetILNS1_3genE5ELNS1_11target_archE942ELNS1_3gpuE9ELNS1_3repE0EEENS1_30default_config_static_selectorELNS0_4arch9wavefront6targetE0EEEvSI_.kd
    .uniform_work_group_size: 1
    .uses_dynamic_stack: false
    .vgpr_count:     0
    .vgpr_spill_count: 0
    .wavefront_size: 32
  - .args:
      - .offset:         0
        .size:           64
        .value_kind:     by_value
    .group_segment_fixed_size: 0
    .kernarg_segment_align: 8
    .kernarg_segment_size: 64
    .language:       OpenCL C
    .language_version:
      - 2
      - 0
    .max_flat_workgroup_size: 256
    .name:           _ZN7rocprim17ROCPRIM_400000_NS6detail17trampoline_kernelINS0_14default_configENS1_22reduce_config_selectorIN6thrust23THRUST_200600_302600_NS5tupleIbffNS6_9null_typeES8_S8_S8_S8_S8_S8_EEEEZNS1_11reduce_implILb1ES3_PS9_SC_S9_12reduce_tupleIifEEE10hipError_tPvRmT1_T2_T3_mT4_P12ihipStream_tbEUlT_E0_NS1_11comp_targetILNS1_3genE4ELNS1_11target_archE910ELNS1_3gpuE8ELNS1_3repE0EEENS1_30default_config_static_selectorELNS0_4arch9wavefront6targetE0EEEvSI_
    .private_segment_fixed_size: 0
    .sgpr_count:     0
    .sgpr_spill_count: 0
    .symbol:         _ZN7rocprim17ROCPRIM_400000_NS6detail17trampoline_kernelINS0_14default_configENS1_22reduce_config_selectorIN6thrust23THRUST_200600_302600_NS5tupleIbffNS6_9null_typeES8_S8_S8_S8_S8_S8_EEEEZNS1_11reduce_implILb1ES3_PS9_SC_S9_12reduce_tupleIifEEE10hipError_tPvRmT1_T2_T3_mT4_P12ihipStream_tbEUlT_E0_NS1_11comp_targetILNS1_3genE4ELNS1_11target_archE910ELNS1_3gpuE8ELNS1_3repE0EEENS1_30default_config_static_selectorELNS0_4arch9wavefront6targetE0EEEvSI_.kd
    .uniform_work_group_size: 1
    .uses_dynamic_stack: false
    .vgpr_count:     0
    .vgpr_spill_count: 0
    .wavefront_size: 32
  - .args:
      - .offset:         0
        .size:           64
        .value_kind:     by_value
    .group_segment_fixed_size: 0
    .kernarg_segment_align: 8
    .kernarg_segment_size: 64
    .language:       OpenCL C
    .language_version:
      - 2
      - 0
    .max_flat_workgroup_size: 128
    .name:           _ZN7rocprim17ROCPRIM_400000_NS6detail17trampoline_kernelINS0_14default_configENS1_22reduce_config_selectorIN6thrust23THRUST_200600_302600_NS5tupleIbffNS6_9null_typeES8_S8_S8_S8_S8_S8_EEEEZNS1_11reduce_implILb1ES3_PS9_SC_S9_12reduce_tupleIifEEE10hipError_tPvRmT1_T2_T3_mT4_P12ihipStream_tbEUlT_E0_NS1_11comp_targetILNS1_3genE3ELNS1_11target_archE908ELNS1_3gpuE7ELNS1_3repE0EEENS1_30default_config_static_selectorELNS0_4arch9wavefront6targetE0EEEvSI_
    .private_segment_fixed_size: 0
    .sgpr_count:     0
    .sgpr_spill_count: 0
    .symbol:         _ZN7rocprim17ROCPRIM_400000_NS6detail17trampoline_kernelINS0_14default_configENS1_22reduce_config_selectorIN6thrust23THRUST_200600_302600_NS5tupleIbffNS6_9null_typeES8_S8_S8_S8_S8_S8_EEEEZNS1_11reduce_implILb1ES3_PS9_SC_S9_12reduce_tupleIifEEE10hipError_tPvRmT1_T2_T3_mT4_P12ihipStream_tbEUlT_E0_NS1_11comp_targetILNS1_3genE3ELNS1_11target_archE908ELNS1_3gpuE7ELNS1_3repE0EEENS1_30default_config_static_selectorELNS0_4arch9wavefront6targetE0EEEvSI_.kd
    .uniform_work_group_size: 1
    .uses_dynamic_stack: false
    .vgpr_count:     0
    .vgpr_spill_count: 0
    .wavefront_size: 32
  - .args:
      - .offset:         0
        .size:           64
        .value_kind:     by_value
    .group_segment_fixed_size: 0
    .kernarg_segment_align: 8
    .kernarg_segment_size: 64
    .language:       OpenCL C
    .language_version:
      - 2
      - 0
    .max_flat_workgroup_size: 128
    .name:           _ZN7rocprim17ROCPRIM_400000_NS6detail17trampoline_kernelINS0_14default_configENS1_22reduce_config_selectorIN6thrust23THRUST_200600_302600_NS5tupleIbffNS6_9null_typeES8_S8_S8_S8_S8_S8_EEEEZNS1_11reduce_implILb1ES3_PS9_SC_S9_12reduce_tupleIifEEE10hipError_tPvRmT1_T2_T3_mT4_P12ihipStream_tbEUlT_E0_NS1_11comp_targetILNS1_3genE2ELNS1_11target_archE906ELNS1_3gpuE6ELNS1_3repE0EEENS1_30default_config_static_selectorELNS0_4arch9wavefront6targetE0EEEvSI_
    .private_segment_fixed_size: 0
    .sgpr_count:     0
    .sgpr_spill_count: 0
    .symbol:         _ZN7rocprim17ROCPRIM_400000_NS6detail17trampoline_kernelINS0_14default_configENS1_22reduce_config_selectorIN6thrust23THRUST_200600_302600_NS5tupleIbffNS6_9null_typeES8_S8_S8_S8_S8_S8_EEEEZNS1_11reduce_implILb1ES3_PS9_SC_S9_12reduce_tupleIifEEE10hipError_tPvRmT1_T2_T3_mT4_P12ihipStream_tbEUlT_E0_NS1_11comp_targetILNS1_3genE2ELNS1_11target_archE906ELNS1_3gpuE6ELNS1_3repE0EEENS1_30default_config_static_selectorELNS0_4arch9wavefront6targetE0EEEvSI_.kd
    .uniform_work_group_size: 1
    .uses_dynamic_stack: false
    .vgpr_count:     0
    .vgpr_spill_count: 0
    .wavefront_size: 32
  - .args:
      - .offset:         0
        .size:           64
        .value_kind:     by_value
    .group_segment_fixed_size: 0
    .kernarg_segment_align: 8
    .kernarg_segment_size: 64
    .language:       OpenCL C
    .language_version:
      - 2
      - 0
    .max_flat_workgroup_size: 256
    .name:           _ZN7rocprim17ROCPRIM_400000_NS6detail17trampoline_kernelINS0_14default_configENS1_22reduce_config_selectorIN6thrust23THRUST_200600_302600_NS5tupleIbffNS6_9null_typeES8_S8_S8_S8_S8_S8_EEEEZNS1_11reduce_implILb1ES3_PS9_SC_S9_12reduce_tupleIifEEE10hipError_tPvRmT1_T2_T3_mT4_P12ihipStream_tbEUlT_E0_NS1_11comp_targetILNS1_3genE10ELNS1_11target_archE1201ELNS1_3gpuE5ELNS1_3repE0EEENS1_30default_config_static_selectorELNS0_4arch9wavefront6targetE0EEEvSI_
    .private_segment_fixed_size: 0
    .sgpr_count:     0
    .sgpr_spill_count: 0
    .symbol:         _ZN7rocprim17ROCPRIM_400000_NS6detail17trampoline_kernelINS0_14default_configENS1_22reduce_config_selectorIN6thrust23THRUST_200600_302600_NS5tupleIbffNS6_9null_typeES8_S8_S8_S8_S8_S8_EEEEZNS1_11reduce_implILb1ES3_PS9_SC_S9_12reduce_tupleIifEEE10hipError_tPvRmT1_T2_T3_mT4_P12ihipStream_tbEUlT_E0_NS1_11comp_targetILNS1_3genE10ELNS1_11target_archE1201ELNS1_3gpuE5ELNS1_3repE0EEENS1_30default_config_static_selectorELNS0_4arch9wavefront6targetE0EEEvSI_.kd
    .uniform_work_group_size: 1
    .uses_dynamic_stack: false
    .vgpr_count:     0
    .vgpr_spill_count: 0
    .wavefront_size: 32
  - .args:
      - .offset:         0
        .size:           64
        .value_kind:     by_value
    .group_segment_fixed_size: 0
    .kernarg_segment_align: 8
    .kernarg_segment_size: 64
    .language:       OpenCL C
    .language_version:
      - 2
      - 0
    .max_flat_workgroup_size: 256
    .name:           _ZN7rocprim17ROCPRIM_400000_NS6detail17trampoline_kernelINS0_14default_configENS1_22reduce_config_selectorIN6thrust23THRUST_200600_302600_NS5tupleIbffNS6_9null_typeES8_S8_S8_S8_S8_S8_EEEEZNS1_11reduce_implILb1ES3_PS9_SC_S9_12reduce_tupleIifEEE10hipError_tPvRmT1_T2_T3_mT4_P12ihipStream_tbEUlT_E0_NS1_11comp_targetILNS1_3genE10ELNS1_11target_archE1200ELNS1_3gpuE4ELNS1_3repE0EEENS1_30default_config_static_selectorELNS0_4arch9wavefront6targetE0EEEvSI_
    .private_segment_fixed_size: 0
    .sgpr_count:     0
    .sgpr_spill_count: 0
    .symbol:         _ZN7rocprim17ROCPRIM_400000_NS6detail17trampoline_kernelINS0_14default_configENS1_22reduce_config_selectorIN6thrust23THRUST_200600_302600_NS5tupleIbffNS6_9null_typeES8_S8_S8_S8_S8_S8_EEEEZNS1_11reduce_implILb1ES3_PS9_SC_S9_12reduce_tupleIifEEE10hipError_tPvRmT1_T2_T3_mT4_P12ihipStream_tbEUlT_E0_NS1_11comp_targetILNS1_3genE10ELNS1_11target_archE1200ELNS1_3gpuE4ELNS1_3repE0EEENS1_30default_config_static_selectorELNS0_4arch9wavefront6targetE0EEEvSI_.kd
    .uniform_work_group_size: 1
    .uses_dynamic_stack: false
    .vgpr_count:     0
    .vgpr_spill_count: 0
    .wavefront_size: 32
  - .args:
      - .offset:         0
        .size:           64
        .value_kind:     by_value
    .group_segment_fixed_size: 0
    .kernarg_segment_align: 8
    .kernarg_segment_size: 64
    .language:       OpenCL C
    .language_version:
      - 2
      - 0
    .max_flat_workgroup_size: 256
    .name:           _ZN7rocprim17ROCPRIM_400000_NS6detail17trampoline_kernelINS0_14default_configENS1_22reduce_config_selectorIN6thrust23THRUST_200600_302600_NS5tupleIbffNS6_9null_typeES8_S8_S8_S8_S8_S8_EEEEZNS1_11reduce_implILb1ES3_PS9_SC_S9_12reduce_tupleIifEEE10hipError_tPvRmT1_T2_T3_mT4_P12ihipStream_tbEUlT_E0_NS1_11comp_targetILNS1_3genE9ELNS1_11target_archE1100ELNS1_3gpuE3ELNS1_3repE0EEENS1_30default_config_static_selectorELNS0_4arch9wavefront6targetE0EEEvSI_
    .private_segment_fixed_size: 0
    .sgpr_count:     0
    .sgpr_spill_count: 0
    .symbol:         _ZN7rocprim17ROCPRIM_400000_NS6detail17trampoline_kernelINS0_14default_configENS1_22reduce_config_selectorIN6thrust23THRUST_200600_302600_NS5tupleIbffNS6_9null_typeES8_S8_S8_S8_S8_S8_EEEEZNS1_11reduce_implILb1ES3_PS9_SC_S9_12reduce_tupleIifEEE10hipError_tPvRmT1_T2_T3_mT4_P12ihipStream_tbEUlT_E0_NS1_11comp_targetILNS1_3genE9ELNS1_11target_archE1100ELNS1_3gpuE3ELNS1_3repE0EEENS1_30default_config_static_selectorELNS0_4arch9wavefront6targetE0EEEvSI_.kd
    .uniform_work_group_size: 1
    .uses_dynamic_stack: false
    .vgpr_count:     0
    .vgpr_spill_count: 0
    .wavefront_size: 32
  - .args:
      - .offset:         0
        .size:           64
        .value_kind:     by_value
    .group_segment_fixed_size: 0
    .kernarg_segment_align: 8
    .kernarg_segment_size: 64
    .language:       OpenCL C
    .language_version:
      - 2
      - 0
    .max_flat_workgroup_size: 256
    .name:           _ZN7rocprim17ROCPRIM_400000_NS6detail17trampoline_kernelINS0_14default_configENS1_22reduce_config_selectorIN6thrust23THRUST_200600_302600_NS5tupleIbffNS6_9null_typeES8_S8_S8_S8_S8_S8_EEEEZNS1_11reduce_implILb1ES3_PS9_SC_S9_12reduce_tupleIifEEE10hipError_tPvRmT1_T2_T3_mT4_P12ihipStream_tbEUlT_E0_NS1_11comp_targetILNS1_3genE8ELNS1_11target_archE1030ELNS1_3gpuE2ELNS1_3repE0EEENS1_30default_config_static_selectorELNS0_4arch9wavefront6targetE0EEEvSI_
    .private_segment_fixed_size: 0
    .sgpr_count:     0
    .sgpr_spill_count: 0
    .symbol:         _ZN7rocprim17ROCPRIM_400000_NS6detail17trampoline_kernelINS0_14default_configENS1_22reduce_config_selectorIN6thrust23THRUST_200600_302600_NS5tupleIbffNS6_9null_typeES8_S8_S8_S8_S8_S8_EEEEZNS1_11reduce_implILb1ES3_PS9_SC_S9_12reduce_tupleIifEEE10hipError_tPvRmT1_T2_T3_mT4_P12ihipStream_tbEUlT_E0_NS1_11comp_targetILNS1_3genE8ELNS1_11target_archE1030ELNS1_3gpuE2ELNS1_3repE0EEENS1_30default_config_static_selectorELNS0_4arch9wavefront6targetE0EEEvSI_.kd
    .uniform_work_group_size: 1
    .uses_dynamic_stack: false
    .vgpr_count:     0
    .vgpr_spill_count: 0
    .wavefront_size: 32
  - .args:
      - .offset:         0
        .size:           48
        .value_kind:     by_value
    .group_segment_fixed_size: 288
    .kernarg_segment_align: 8
    .kernarg_segment_size: 48
    .language:       OpenCL C
    .language_version:
      - 2
      - 0
    .max_flat_workgroup_size: 128
    .name:           _ZN7rocprim17ROCPRIM_400000_NS6detail17trampoline_kernelINS0_14default_configENS1_22reduce_config_selectorIN6thrust23THRUST_200600_302600_NS5tupleIbffNS6_9null_typeES8_S8_S8_S8_S8_S8_EEEEZNS1_11reduce_implILb1ES3_PS9_SC_S9_12reduce_tupleIifEEE10hipError_tPvRmT1_T2_T3_mT4_P12ihipStream_tbEUlT_E1_NS1_11comp_targetILNS1_3genE0ELNS1_11target_archE4294967295ELNS1_3gpuE0ELNS1_3repE0EEENS1_30default_config_static_selectorELNS0_4arch9wavefront6targetE0EEEvSI_
    .private_segment_fixed_size: 0
    .sgpr_count:     33
    .sgpr_spill_count: 0
    .symbol:         _ZN7rocprim17ROCPRIM_400000_NS6detail17trampoline_kernelINS0_14default_configENS1_22reduce_config_selectorIN6thrust23THRUST_200600_302600_NS5tupleIbffNS6_9null_typeES8_S8_S8_S8_S8_S8_EEEEZNS1_11reduce_implILb1ES3_PS9_SC_S9_12reduce_tupleIifEEE10hipError_tPvRmT1_T2_T3_mT4_P12ihipStream_tbEUlT_E1_NS1_11comp_targetILNS1_3genE0ELNS1_11target_archE4294967295ELNS1_3gpuE0ELNS1_3repE0EEENS1_30default_config_static_selectorELNS0_4arch9wavefront6targetE0EEEvSI_.kd
    .uniform_work_group_size: 1
    .uses_dynamic_stack: false
    .vgpr_count:     52
    .vgpr_spill_count: 0
    .wavefront_size: 32
  - .args:
      - .offset:         0
        .size:           48
        .value_kind:     by_value
    .group_segment_fixed_size: 0
    .kernarg_segment_align: 8
    .kernarg_segment_size: 48
    .language:       OpenCL C
    .language_version:
      - 2
      - 0
    .max_flat_workgroup_size: 256
    .name:           _ZN7rocprim17ROCPRIM_400000_NS6detail17trampoline_kernelINS0_14default_configENS1_22reduce_config_selectorIN6thrust23THRUST_200600_302600_NS5tupleIbffNS6_9null_typeES8_S8_S8_S8_S8_S8_EEEEZNS1_11reduce_implILb1ES3_PS9_SC_S9_12reduce_tupleIifEEE10hipError_tPvRmT1_T2_T3_mT4_P12ihipStream_tbEUlT_E1_NS1_11comp_targetILNS1_3genE5ELNS1_11target_archE942ELNS1_3gpuE9ELNS1_3repE0EEENS1_30default_config_static_selectorELNS0_4arch9wavefront6targetE0EEEvSI_
    .private_segment_fixed_size: 0
    .sgpr_count:     0
    .sgpr_spill_count: 0
    .symbol:         _ZN7rocprim17ROCPRIM_400000_NS6detail17trampoline_kernelINS0_14default_configENS1_22reduce_config_selectorIN6thrust23THRUST_200600_302600_NS5tupleIbffNS6_9null_typeES8_S8_S8_S8_S8_S8_EEEEZNS1_11reduce_implILb1ES3_PS9_SC_S9_12reduce_tupleIifEEE10hipError_tPvRmT1_T2_T3_mT4_P12ihipStream_tbEUlT_E1_NS1_11comp_targetILNS1_3genE5ELNS1_11target_archE942ELNS1_3gpuE9ELNS1_3repE0EEENS1_30default_config_static_selectorELNS0_4arch9wavefront6targetE0EEEvSI_.kd
    .uniform_work_group_size: 1
    .uses_dynamic_stack: false
    .vgpr_count:     0
    .vgpr_spill_count: 0
    .wavefront_size: 32
  - .args:
      - .offset:         0
        .size:           48
        .value_kind:     by_value
    .group_segment_fixed_size: 0
    .kernarg_segment_align: 8
    .kernarg_segment_size: 48
    .language:       OpenCL C
    .language_version:
      - 2
      - 0
    .max_flat_workgroup_size: 256
    .name:           _ZN7rocprim17ROCPRIM_400000_NS6detail17trampoline_kernelINS0_14default_configENS1_22reduce_config_selectorIN6thrust23THRUST_200600_302600_NS5tupleIbffNS6_9null_typeES8_S8_S8_S8_S8_S8_EEEEZNS1_11reduce_implILb1ES3_PS9_SC_S9_12reduce_tupleIifEEE10hipError_tPvRmT1_T2_T3_mT4_P12ihipStream_tbEUlT_E1_NS1_11comp_targetILNS1_3genE4ELNS1_11target_archE910ELNS1_3gpuE8ELNS1_3repE0EEENS1_30default_config_static_selectorELNS0_4arch9wavefront6targetE0EEEvSI_
    .private_segment_fixed_size: 0
    .sgpr_count:     0
    .sgpr_spill_count: 0
    .symbol:         _ZN7rocprim17ROCPRIM_400000_NS6detail17trampoline_kernelINS0_14default_configENS1_22reduce_config_selectorIN6thrust23THRUST_200600_302600_NS5tupleIbffNS6_9null_typeES8_S8_S8_S8_S8_S8_EEEEZNS1_11reduce_implILb1ES3_PS9_SC_S9_12reduce_tupleIifEEE10hipError_tPvRmT1_T2_T3_mT4_P12ihipStream_tbEUlT_E1_NS1_11comp_targetILNS1_3genE4ELNS1_11target_archE910ELNS1_3gpuE8ELNS1_3repE0EEENS1_30default_config_static_selectorELNS0_4arch9wavefront6targetE0EEEvSI_.kd
    .uniform_work_group_size: 1
    .uses_dynamic_stack: false
    .vgpr_count:     0
    .vgpr_spill_count: 0
    .wavefront_size: 32
  - .args:
      - .offset:         0
        .size:           48
        .value_kind:     by_value
    .group_segment_fixed_size: 0
    .kernarg_segment_align: 8
    .kernarg_segment_size: 48
    .language:       OpenCL C
    .language_version:
      - 2
      - 0
    .max_flat_workgroup_size: 128
    .name:           _ZN7rocprim17ROCPRIM_400000_NS6detail17trampoline_kernelINS0_14default_configENS1_22reduce_config_selectorIN6thrust23THRUST_200600_302600_NS5tupleIbffNS6_9null_typeES8_S8_S8_S8_S8_S8_EEEEZNS1_11reduce_implILb1ES3_PS9_SC_S9_12reduce_tupleIifEEE10hipError_tPvRmT1_T2_T3_mT4_P12ihipStream_tbEUlT_E1_NS1_11comp_targetILNS1_3genE3ELNS1_11target_archE908ELNS1_3gpuE7ELNS1_3repE0EEENS1_30default_config_static_selectorELNS0_4arch9wavefront6targetE0EEEvSI_
    .private_segment_fixed_size: 0
    .sgpr_count:     0
    .sgpr_spill_count: 0
    .symbol:         _ZN7rocprim17ROCPRIM_400000_NS6detail17trampoline_kernelINS0_14default_configENS1_22reduce_config_selectorIN6thrust23THRUST_200600_302600_NS5tupleIbffNS6_9null_typeES8_S8_S8_S8_S8_S8_EEEEZNS1_11reduce_implILb1ES3_PS9_SC_S9_12reduce_tupleIifEEE10hipError_tPvRmT1_T2_T3_mT4_P12ihipStream_tbEUlT_E1_NS1_11comp_targetILNS1_3genE3ELNS1_11target_archE908ELNS1_3gpuE7ELNS1_3repE0EEENS1_30default_config_static_selectorELNS0_4arch9wavefront6targetE0EEEvSI_.kd
    .uniform_work_group_size: 1
    .uses_dynamic_stack: false
    .vgpr_count:     0
    .vgpr_spill_count: 0
    .wavefront_size: 32
  - .args:
      - .offset:         0
        .size:           48
        .value_kind:     by_value
    .group_segment_fixed_size: 0
    .kernarg_segment_align: 8
    .kernarg_segment_size: 48
    .language:       OpenCL C
    .language_version:
      - 2
      - 0
    .max_flat_workgroup_size: 128
    .name:           _ZN7rocprim17ROCPRIM_400000_NS6detail17trampoline_kernelINS0_14default_configENS1_22reduce_config_selectorIN6thrust23THRUST_200600_302600_NS5tupleIbffNS6_9null_typeES8_S8_S8_S8_S8_S8_EEEEZNS1_11reduce_implILb1ES3_PS9_SC_S9_12reduce_tupleIifEEE10hipError_tPvRmT1_T2_T3_mT4_P12ihipStream_tbEUlT_E1_NS1_11comp_targetILNS1_3genE2ELNS1_11target_archE906ELNS1_3gpuE6ELNS1_3repE0EEENS1_30default_config_static_selectorELNS0_4arch9wavefront6targetE0EEEvSI_
    .private_segment_fixed_size: 0
    .sgpr_count:     0
    .sgpr_spill_count: 0
    .symbol:         _ZN7rocprim17ROCPRIM_400000_NS6detail17trampoline_kernelINS0_14default_configENS1_22reduce_config_selectorIN6thrust23THRUST_200600_302600_NS5tupleIbffNS6_9null_typeES8_S8_S8_S8_S8_S8_EEEEZNS1_11reduce_implILb1ES3_PS9_SC_S9_12reduce_tupleIifEEE10hipError_tPvRmT1_T2_T3_mT4_P12ihipStream_tbEUlT_E1_NS1_11comp_targetILNS1_3genE2ELNS1_11target_archE906ELNS1_3gpuE6ELNS1_3repE0EEENS1_30default_config_static_selectorELNS0_4arch9wavefront6targetE0EEEvSI_.kd
    .uniform_work_group_size: 1
    .uses_dynamic_stack: false
    .vgpr_count:     0
    .vgpr_spill_count: 0
    .wavefront_size: 32
  - .args:
      - .offset:         0
        .size:           48
        .value_kind:     by_value
    .group_segment_fixed_size: 0
    .kernarg_segment_align: 8
    .kernarg_segment_size: 48
    .language:       OpenCL C
    .language_version:
      - 2
      - 0
    .max_flat_workgroup_size: 256
    .name:           _ZN7rocprim17ROCPRIM_400000_NS6detail17trampoline_kernelINS0_14default_configENS1_22reduce_config_selectorIN6thrust23THRUST_200600_302600_NS5tupleIbffNS6_9null_typeES8_S8_S8_S8_S8_S8_EEEEZNS1_11reduce_implILb1ES3_PS9_SC_S9_12reduce_tupleIifEEE10hipError_tPvRmT1_T2_T3_mT4_P12ihipStream_tbEUlT_E1_NS1_11comp_targetILNS1_3genE10ELNS1_11target_archE1201ELNS1_3gpuE5ELNS1_3repE0EEENS1_30default_config_static_selectorELNS0_4arch9wavefront6targetE0EEEvSI_
    .private_segment_fixed_size: 0
    .sgpr_count:     0
    .sgpr_spill_count: 0
    .symbol:         _ZN7rocprim17ROCPRIM_400000_NS6detail17trampoline_kernelINS0_14default_configENS1_22reduce_config_selectorIN6thrust23THRUST_200600_302600_NS5tupleIbffNS6_9null_typeES8_S8_S8_S8_S8_S8_EEEEZNS1_11reduce_implILb1ES3_PS9_SC_S9_12reduce_tupleIifEEE10hipError_tPvRmT1_T2_T3_mT4_P12ihipStream_tbEUlT_E1_NS1_11comp_targetILNS1_3genE10ELNS1_11target_archE1201ELNS1_3gpuE5ELNS1_3repE0EEENS1_30default_config_static_selectorELNS0_4arch9wavefront6targetE0EEEvSI_.kd
    .uniform_work_group_size: 1
    .uses_dynamic_stack: false
    .vgpr_count:     0
    .vgpr_spill_count: 0
    .wavefront_size: 32
  - .args:
      - .offset:         0
        .size:           48
        .value_kind:     by_value
    .group_segment_fixed_size: 0
    .kernarg_segment_align: 8
    .kernarg_segment_size: 48
    .language:       OpenCL C
    .language_version:
      - 2
      - 0
    .max_flat_workgroup_size: 256
    .name:           _ZN7rocprim17ROCPRIM_400000_NS6detail17trampoline_kernelINS0_14default_configENS1_22reduce_config_selectorIN6thrust23THRUST_200600_302600_NS5tupleIbffNS6_9null_typeES8_S8_S8_S8_S8_S8_EEEEZNS1_11reduce_implILb1ES3_PS9_SC_S9_12reduce_tupleIifEEE10hipError_tPvRmT1_T2_T3_mT4_P12ihipStream_tbEUlT_E1_NS1_11comp_targetILNS1_3genE10ELNS1_11target_archE1200ELNS1_3gpuE4ELNS1_3repE0EEENS1_30default_config_static_selectorELNS0_4arch9wavefront6targetE0EEEvSI_
    .private_segment_fixed_size: 0
    .sgpr_count:     0
    .sgpr_spill_count: 0
    .symbol:         _ZN7rocprim17ROCPRIM_400000_NS6detail17trampoline_kernelINS0_14default_configENS1_22reduce_config_selectorIN6thrust23THRUST_200600_302600_NS5tupleIbffNS6_9null_typeES8_S8_S8_S8_S8_S8_EEEEZNS1_11reduce_implILb1ES3_PS9_SC_S9_12reduce_tupleIifEEE10hipError_tPvRmT1_T2_T3_mT4_P12ihipStream_tbEUlT_E1_NS1_11comp_targetILNS1_3genE10ELNS1_11target_archE1200ELNS1_3gpuE4ELNS1_3repE0EEENS1_30default_config_static_selectorELNS0_4arch9wavefront6targetE0EEEvSI_.kd
    .uniform_work_group_size: 1
    .uses_dynamic_stack: false
    .vgpr_count:     0
    .vgpr_spill_count: 0
    .wavefront_size: 32
  - .args:
      - .offset:         0
        .size:           48
        .value_kind:     by_value
    .group_segment_fixed_size: 0
    .kernarg_segment_align: 8
    .kernarg_segment_size: 48
    .language:       OpenCL C
    .language_version:
      - 2
      - 0
    .max_flat_workgroup_size: 256
    .name:           _ZN7rocprim17ROCPRIM_400000_NS6detail17trampoline_kernelINS0_14default_configENS1_22reduce_config_selectorIN6thrust23THRUST_200600_302600_NS5tupleIbffNS6_9null_typeES8_S8_S8_S8_S8_S8_EEEEZNS1_11reduce_implILb1ES3_PS9_SC_S9_12reduce_tupleIifEEE10hipError_tPvRmT1_T2_T3_mT4_P12ihipStream_tbEUlT_E1_NS1_11comp_targetILNS1_3genE9ELNS1_11target_archE1100ELNS1_3gpuE3ELNS1_3repE0EEENS1_30default_config_static_selectorELNS0_4arch9wavefront6targetE0EEEvSI_
    .private_segment_fixed_size: 0
    .sgpr_count:     0
    .sgpr_spill_count: 0
    .symbol:         _ZN7rocprim17ROCPRIM_400000_NS6detail17trampoline_kernelINS0_14default_configENS1_22reduce_config_selectorIN6thrust23THRUST_200600_302600_NS5tupleIbffNS6_9null_typeES8_S8_S8_S8_S8_S8_EEEEZNS1_11reduce_implILb1ES3_PS9_SC_S9_12reduce_tupleIifEEE10hipError_tPvRmT1_T2_T3_mT4_P12ihipStream_tbEUlT_E1_NS1_11comp_targetILNS1_3genE9ELNS1_11target_archE1100ELNS1_3gpuE3ELNS1_3repE0EEENS1_30default_config_static_selectorELNS0_4arch9wavefront6targetE0EEEvSI_.kd
    .uniform_work_group_size: 1
    .uses_dynamic_stack: false
    .vgpr_count:     0
    .vgpr_spill_count: 0
    .wavefront_size: 32
  - .args:
      - .offset:         0
        .size:           48
        .value_kind:     by_value
    .group_segment_fixed_size: 0
    .kernarg_segment_align: 8
    .kernarg_segment_size: 48
    .language:       OpenCL C
    .language_version:
      - 2
      - 0
    .max_flat_workgroup_size: 256
    .name:           _ZN7rocprim17ROCPRIM_400000_NS6detail17trampoline_kernelINS0_14default_configENS1_22reduce_config_selectorIN6thrust23THRUST_200600_302600_NS5tupleIbffNS6_9null_typeES8_S8_S8_S8_S8_S8_EEEEZNS1_11reduce_implILb1ES3_PS9_SC_S9_12reduce_tupleIifEEE10hipError_tPvRmT1_T2_T3_mT4_P12ihipStream_tbEUlT_E1_NS1_11comp_targetILNS1_3genE8ELNS1_11target_archE1030ELNS1_3gpuE2ELNS1_3repE0EEENS1_30default_config_static_selectorELNS0_4arch9wavefront6targetE0EEEvSI_
    .private_segment_fixed_size: 0
    .sgpr_count:     0
    .sgpr_spill_count: 0
    .symbol:         _ZN7rocprim17ROCPRIM_400000_NS6detail17trampoline_kernelINS0_14default_configENS1_22reduce_config_selectorIN6thrust23THRUST_200600_302600_NS5tupleIbffNS6_9null_typeES8_S8_S8_S8_S8_S8_EEEEZNS1_11reduce_implILb1ES3_PS9_SC_S9_12reduce_tupleIifEEE10hipError_tPvRmT1_T2_T3_mT4_P12ihipStream_tbEUlT_E1_NS1_11comp_targetILNS1_3genE8ELNS1_11target_archE1030ELNS1_3gpuE2ELNS1_3repE0EEENS1_30default_config_static_selectorELNS0_4arch9wavefront6targetE0EEEvSI_.kd
    .uniform_work_group_size: 1
    .uses_dynamic_stack: false
    .vgpr_count:     0
    .vgpr_spill_count: 0
    .wavefront_size: 32
  - .args:
      - .offset:         0
        .size:           80
        .value_kind:     by_value
    .group_segment_fixed_size: 96
    .kernarg_segment_align: 8
    .kernarg_segment_size: 80
    .language:       OpenCL C
    .language_version:
      - 2
      - 0
    .max_flat_workgroup_size: 128
    .name:           _ZN7rocprim17ROCPRIM_400000_NS6detail17trampoline_kernelINS0_14default_configENS1_22reduce_config_selectorIN6thrust23THRUST_200600_302600_NS5tupleIbffNS6_9null_typeES8_S8_S8_S8_S8_S8_EEEEZNS1_11reduce_implILb1ES3_NS6_11hip_rocprim26transform_input_iterator_tIS9_NS6_12zip_iteratorINS7_INS6_17counting_iteratorIiNS6_11use_defaultESG_SG_EENS6_6detail15normal_iteratorINS6_10device_ptrIfEEEES8_S8_S8_S8_S8_S8_S8_S8_EEEE15transform_tupleIifEEEPS9_S9_12reduce_tupleIifEEE10hipError_tPvRmT1_T2_T3_mT4_P12ihipStream_tbEUlT_E0_NS1_11comp_targetILNS1_3genE0ELNS1_11target_archE4294967295ELNS1_3gpuE0ELNS1_3repE0EEENS1_30default_config_static_selectorELNS0_4arch9wavefront6targetE0EEEvSY_
    .private_segment_fixed_size: 0
    .sgpr_count:     26
    .sgpr_spill_count: 0
    .symbol:         _ZN7rocprim17ROCPRIM_400000_NS6detail17trampoline_kernelINS0_14default_configENS1_22reduce_config_selectorIN6thrust23THRUST_200600_302600_NS5tupleIbffNS6_9null_typeES8_S8_S8_S8_S8_S8_EEEEZNS1_11reduce_implILb1ES3_NS6_11hip_rocprim26transform_input_iterator_tIS9_NS6_12zip_iteratorINS7_INS6_17counting_iteratorIiNS6_11use_defaultESG_SG_EENS6_6detail15normal_iteratorINS6_10device_ptrIfEEEES8_S8_S8_S8_S8_S8_S8_S8_EEEE15transform_tupleIifEEEPS9_S9_12reduce_tupleIifEEE10hipError_tPvRmT1_T2_T3_mT4_P12ihipStream_tbEUlT_E0_NS1_11comp_targetILNS1_3genE0ELNS1_11target_archE4294967295ELNS1_3gpuE0ELNS1_3repE0EEENS1_30default_config_static_selectorELNS0_4arch9wavefront6targetE0EEEvSY_.kd
    .uniform_work_group_size: 1
    .uses_dynamic_stack: false
    .vgpr_count:     12
    .vgpr_spill_count: 0
    .wavefront_size: 32
  - .args:
      - .offset:         0
        .size:           80
        .value_kind:     by_value
    .group_segment_fixed_size: 0
    .kernarg_segment_align: 8
    .kernarg_segment_size: 80
    .language:       OpenCL C
    .language_version:
      - 2
      - 0
    .max_flat_workgroup_size: 256
    .name:           _ZN7rocprim17ROCPRIM_400000_NS6detail17trampoline_kernelINS0_14default_configENS1_22reduce_config_selectorIN6thrust23THRUST_200600_302600_NS5tupleIbffNS6_9null_typeES8_S8_S8_S8_S8_S8_EEEEZNS1_11reduce_implILb1ES3_NS6_11hip_rocprim26transform_input_iterator_tIS9_NS6_12zip_iteratorINS7_INS6_17counting_iteratorIiNS6_11use_defaultESG_SG_EENS6_6detail15normal_iteratorINS6_10device_ptrIfEEEES8_S8_S8_S8_S8_S8_S8_S8_EEEE15transform_tupleIifEEEPS9_S9_12reduce_tupleIifEEE10hipError_tPvRmT1_T2_T3_mT4_P12ihipStream_tbEUlT_E0_NS1_11comp_targetILNS1_3genE5ELNS1_11target_archE942ELNS1_3gpuE9ELNS1_3repE0EEENS1_30default_config_static_selectorELNS0_4arch9wavefront6targetE0EEEvSY_
    .private_segment_fixed_size: 0
    .sgpr_count:     0
    .sgpr_spill_count: 0
    .symbol:         _ZN7rocprim17ROCPRIM_400000_NS6detail17trampoline_kernelINS0_14default_configENS1_22reduce_config_selectorIN6thrust23THRUST_200600_302600_NS5tupleIbffNS6_9null_typeES8_S8_S8_S8_S8_S8_EEEEZNS1_11reduce_implILb1ES3_NS6_11hip_rocprim26transform_input_iterator_tIS9_NS6_12zip_iteratorINS7_INS6_17counting_iteratorIiNS6_11use_defaultESG_SG_EENS6_6detail15normal_iteratorINS6_10device_ptrIfEEEES8_S8_S8_S8_S8_S8_S8_S8_EEEE15transform_tupleIifEEEPS9_S9_12reduce_tupleIifEEE10hipError_tPvRmT1_T2_T3_mT4_P12ihipStream_tbEUlT_E0_NS1_11comp_targetILNS1_3genE5ELNS1_11target_archE942ELNS1_3gpuE9ELNS1_3repE0EEENS1_30default_config_static_selectorELNS0_4arch9wavefront6targetE0EEEvSY_.kd
    .uniform_work_group_size: 1
    .uses_dynamic_stack: false
    .vgpr_count:     0
    .vgpr_spill_count: 0
    .wavefront_size: 32
  - .args:
      - .offset:         0
        .size:           80
        .value_kind:     by_value
    .group_segment_fixed_size: 0
    .kernarg_segment_align: 8
    .kernarg_segment_size: 80
    .language:       OpenCL C
    .language_version:
      - 2
      - 0
    .max_flat_workgroup_size: 256
    .name:           _ZN7rocprim17ROCPRIM_400000_NS6detail17trampoline_kernelINS0_14default_configENS1_22reduce_config_selectorIN6thrust23THRUST_200600_302600_NS5tupleIbffNS6_9null_typeES8_S8_S8_S8_S8_S8_EEEEZNS1_11reduce_implILb1ES3_NS6_11hip_rocprim26transform_input_iterator_tIS9_NS6_12zip_iteratorINS7_INS6_17counting_iteratorIiNS6_11use_defaultESG_SG_EENS6_6detail15normal_iteratorINS6_10device_ptrIfEEEES8_S8_S8_S8_S8_S8_S8_S8_EEEE15transform_tupleIifEEEPS9_S9_12reduce_tupleIifEEE10hipError_tPvRmT1_T2_T3_mT4_P12ihipStream_tbEUlT_E0_NS1_11comp_targetILNS1_3genE4ELNS1_11target_archE910ELNS1_3gpuE8ELNS1_3repE0EEENS1_30default_config_static_selectorELNS0_4arch9wavefront6targetE0EEEvSY_
    .private_segment_fixed_size: 0
    .sgpr_count:     0
    .sgpr_spill_count: 0
    .symbol:         _ZN7rocprim17ROCPRIM_400000_NS6detail17trampoline_kernelINS0_14default_configENS1_22reduce_config_selectorIN6thrust23THRUST_200600_302600_NS5tupleIbffNS6_9null_typeES8_S8_S8_S8_S8_S8_EEEEZNS1_11reduce_implILb1ES3_NS6_11hip_rocprim26transform_input_iterator_tIS9_NS6_12zip_iteratorINS7_INS6_17counting_iteratorIiNS6_11use_defaultESG_SG_EENS6_6detail15normal_iteratorINS6_10device_ptrIfEEEES8_S8_S8_S8_S8_S8_S8_S8_EEEE15transform_tupleIifEEEPS9_S9_12reduce_tupleIifEEE10hipError_tPvRmT1_T2_T3_mT4_P12ihipStream_tbEUlT_E0_NS1_11comp_targetILNS1_3genE4ELNS1_11target_archE910ELNS1_3gpuE8ELNS1_3repE0EEENS1_30default_config_static_selectorELNS0_4arch9wavefront6targetE0EEEvSY_.kd
    .uniform_work_group_size: 1
    .uses_dynamic_stack: false
    .vgpr_count:     0
    .vgpr_spill_count: 0
    .wavefront_size: 32
  - .args:
      - .offset:         0
        .size:           80
        .value_kind:     by_value
    .group_segment_fixed_size: 0
    .kernarg_segment_align: 8
    .kernarg_segment_size: 80
    .language:       OpenCL C
    .language_version:
      - 2
      - 0
    .max_flat_workgroup_size: 128
    .name:           _ZN7rocprim17ROCPRIM_400000_NS6detail17trampoline_kernelINS0_14default_configENS1_22reduce_config_selectorIN6thrust23THRUST_200600_302600_NS5tupleIbffNS6_9null_typeES8_S8_S8_S8_S8_S8_EEEEZNS1_11reduce_implILb1ES3_NS6_11hip_rocprim26transform_input_iterator_tIS9_NS6_12zip_iteratorINS7_INS6_17counting_iteratorIiNS6_11use_defaultESG_SG_EENS6_6detail15normal_iteratorINS6_10device_ptrIfEEEES8_S8_S8_S8_S8_S8_S8_S8_EEEE15transform_tupleIifEEEPS9_S9_12reduce_tupleIifEEE10hipError_tPvRmT1_T2_T3_mT4_P12ihipStream_tbEUlT_E0_NS1_11comp_targetILNS1_3genE3ELNS1_11target_archE908ELNS1_3gpuE7ELNS1_3repE0EEENS1_30default_config_static_selectorELNS0_4arch9wavefront6targetE0EEEvSY_
    .private_segment_fixed_size: 0
    .sgpr_count:     0
    .sgpr_spill_count: 0
    .symbol:         _ZN7rocprim17ROCPRIM_400000_NS6detail17trampoline_kernelINS0_14default_configENS1_22reduce_config_selectorIN6thrust23THRUST_200600_302600_NS5tupleIbffNS6_9null_typeES8_S8_S8_S8_S8_S8_EEEEZNS1_11reduce_implILb1ES3_NS6_11hip_rocprim26transform_input_iterator_tIS9_NS6_12zip_iteratorINS7_INS6_17counting_iteratorIiNS6_11use_defaultESG_SG_EENS6_6detail15normal_iteratorINS6_10device_ptrIfEEEES8_S8_S8_S8_S8_S8_S8_S8_EEEE15transform_tupleIifEEEPS9_S9_12reduce_tupleIifEEE10hipError_tPvRmT1_T2_T3_mT4_P12ihipStream_tbEUlT_E0_NS1_11comp_targetILNS1_3genE3ELNS1_11target_archE908ELNS1_3gpuE7ELNS1_3repE0EEENS1_30default_config_static_selectorELNS0_4arch9wavefront6targetE0EEEvSY_.kd
    .uniform_work_group_size: 1
    .uses_dynamic_stack: false
    .vgpr_count:     0
    .vgpr_spill_count: 0
    .wavefront_size: 32
  - .args:
      - .offset:         0
        .size:           80
        .value_kind:     by_value
    .group_segment_fixed_size: 0
    .kernarg_segment_align: 8
    .kernarg_segment_size: 80
    .language:       OpenCL C
    .language_version:
      - 2
      - 0
    .max_flat_workgroup_size: 128
    .name:           _ZN7rocprim17ROCPRIM_400000_NS6detail17trampoline_kernelINS0_14default_configENS1_22reduce_config_selectorIN6thrust23THRUST_200600_302600_NS5tupleIbffNS6_9null_typeES8_S8_S8_S8_S8_S8_EEEEZNS1_11reduce_implILb1ES3_NS6_11hip_rocprim26transform_input_iterator_tIS9_NS6_12zip_iteratorINS7_INS6_17counting_iteratorIiNS6_11use_defaultESG_SG_EENS6_6detail15normal_iteratorINS6_10device_ptrIfEEEES8_S8_S8_S8_S8_S8_S8_S8_EEEE15transform_tupleIifEEEPS9_S9_12reduce_tupleIifEEE10hipError_tPvRmT1_T2_T3_mT4_P12ihipStream_tbEUlT_E0_NS1_11comp_targetILNS1_3genE2ELNS1_11target_archE906ELNS1_3gpuE6ELNS1_3repE0EEENS1_30default_config_static_selectorELNS0_4arch9wavefront6targetE0EEEvSY_
    .private_segment_fixed_size: 0
    .sgpr_count:     0
    .sgpr_spill_count: 0
    .symbol:         _ZN7rocprim17ROCPRIM_400000_NS6detail17trampoline_kernelINS0_14default_configENS1_22reduce_config_selectorIN6thrust23THRUST_200600_302600_NS5tupleIbffNS6_9null_typeES8_S8_S8_S8_S8_S8_EEEEZNS1_11reduce_implILb1ES3_NS6_11hip_rocprim26transform_input_iterator_tIS9_NS6_12zip_iteratorINS7_INS6_17counting_iteratorIiNS6_11use_defaultESG_SG_EENS6_6detail15normal_iteratorINS6_10device_ptrIfEEEES8_S8_S8_S8_S8_S8_S8_S8_EEEE15transform_tupleIifEEEPS9_S9_12reduce_tupleIifEEE10hipError_tPvRmT1_T2_T3_mT4_P12ihipStream_tbEUlT_E0_NS1_11comp_targetILNS1_3genE2ELNS1_11target_archE906ELNS1_3gpuE6ELNS1_3repE0EEENS1_30default_config_static_selectorELNS0_4arch9wavefront6targetE0EEEvSY_.kd
    .uniform_work_group_size: 1
    .uses_dynamic_stack: false
    .vgpr_count:     0
    .vgpr_spill_count: 0
    .wavefront_size: 32
  - .args:
      - .offset:         0
        .size:           80
        .value_kind:     by_value
    .group_segment_fixed_size: 0
    .kernarg_segment_align: 8
    .kernarg_segment_size: 80
    .language:       OpenCL C
    .language_version:
      - 2
      - 0
    .max_flat_workgroup_size: 256
    .name:           _ZN7rocprim17ROCPRIM_400000_NS6detail17trampoline_kernelINS0_14default_configENS1_22reduce_config_selectorIN6thrust23THRUST_200600_302600_NS5tupleIbffNS6_9null_typeES8_S8_S8_S8_S8_S8_EEEEZNS1_11reduce_implILb1ES3_NS6_11hip_rocprim26transform_input_iterator_tIS9_NS6_12zip_iteratorINS7_INS6_17counting_iteratorIiNS6_11use_defaultESG_SG_EENS6_6detail15normal_iteratorINS6_10device_ptrIfEEEES8_S8_S8_S8_S8_S8_S8_S8_EEEE15transform_tupleIifEEEPS9_S9_12reduce_tupleIifEEE10hipError_tPvRmT1_T2_T3_mT4_P12ihipStream_tbEUlT_E0_NS1_11comp_targetILNS1_3genE10ELNS1_11target_archE1201ELNS1_3gpuE5ELNS1_3repE0EEENS1_30default_config_static_selectorELNS0_4arch9wavefront6targetE0EEEvSY_
    .private_segment_fixed_size: 0
    .sgpr_count:     0
    .sgpr_spill_count: 0
    .symbol:         _ZN7rocprim17ROCPRIM_400000_NS6detail17trampoline_kernelINS0_14default_configENS1_22reduce_config_selectorIN6thrust23THRUST_200600_302600_NS5tupleIbffNS6_9null_typeES8_S8_S8_S8_S8_S8_EEEEZNS1_11reduce_implILb1ES3_NS6_11hip_rocprim26transform_input_iterator_tIS9_NS6_12zip_iteratorINS7_INS6_17counting_iteratorIiNS6_11use_defaultESG_SG_EENS6_6detail15normal_iteratorINS6_10device_ptrIfEEEES8_S8_S8_S8_S8_S8_S8_S8_EEEE15transform_tupleIifEEEPS9_S9_12reduce_tupleIifEEE10hipError_tPvRmT1_T2_T3_mT4_P12ihipStream_tbEUlT_E0_NS1_11comp_targetILNS1_3genE10ELNS1_11target_archE1201ELNS1_3gpuE5ELNS1_3repE0EEENS1_30default_config_static_selectorELNS0_4arch9wavefront6targetE0EEEvSY_.kd
    .uniform_work_group_size: 1
    .uses_dynamic_stack: false
    .vgpr_count:     0
    .vgpr_spill_count: 0
    .wavefront_size: 32
  - .args:
      - .offset:         0
        .size:           80
        .value_kind:     by_value
    .group_segment_fixed_size: 0
    .kernarg_segment_align: 8
    .kernarg_segment_size: 80
    .language:       OpenCL C
    .language_version:
      - 2
      - 0
    .max_flat_workgroup_size: 256
    .name:           _ZN7rocprim17ROCPRIM_400000_NS6detail17trampoline_kernelINS0_14default_configENS1_22reduce_config_selectorIN6thrust23THRUST_200600_302600_NS5tupleIbffNS6_9null_typeES8_S8_S8_S8_S8_S8_EEEEZNS1_11reduce_implILb1ES3_NS6_11hip_rocprim26transform_input_iterator_tIS9_NS6_12zip_iteratorINS7_INS6_17counting_iteratorIiNS6_11use_defaultESG_SG_EENS6_6detail15normal_iteratorINS6_10device_ptrIfEEEES8_S8_S8_S8_S8_S8_S8_S8_EEEE15transform_tupleIifEEEPS9_S9_12reduce_tupleIifEEE10hipError_tPvRmT1_T2_T3_mT4_P12ihipStream_tbEUlT_E0_NS1_11comp_targetILNS1_3genE10ELNS1_11target_archE1200ELNS1_3gpuE4ELNS1_3repE0EEENS1_30default_config_static_selectorELNS0_4arch9wavefront6targetE0EEEvSY_
    .private_segment_fixed_size: 0
    .sgpr_count:     0
    .sgpr_spill_count: 0
    .symbol:         _ZN7rocprim17ROCPRIM_400000_NS6detail17trampoline_kernelINS0_14default_configENS1_22reduce_config_selectorIN6thrust23THRUST_200600_302600_NS5tupleIbffNS6_9null_typeES8_S8_S8_S8_S8_S8_EEEEZNS1_11reduce_implILb1ES3_NS6_11hip_rocprim26transform_input_iterator_tIS9_NS6_12zip_iteratorINS7_INS6_17counting_iteratorIiNS6_11use_defaultESG_SG_EENS6_6detail15normal_iteratorINS6_10device_ptrIfEEEES8_S8_S8_S8_S8_S8_S8_S8_EEEE15transform_tupleIifEEEPS9_S9_12reduce_tupleIifEEE10hipError_tPvRmT1_T2_T3_mT4_P12ihipStream_tbEUlT_E0_NS1_11comp_targetILNS1_3genE10ELNS1_11target_archE1200ELNS1_3gpuE4ELNS1_3repE0EEENS1_30default_config_static_selectorELNS0_4arch9wavefront6targetE0EEEvSY_.kd
    .uniform_work_group_size: 1
    .uses_dynamic_stack: false
    .vgpr_count:     0
    .vgpr_spill_count: 0
    .wavefront_size: 32
  - .args:
      - .offset:         0
        .size:           80
        .value_kind:     by_value
    .group_segment_fixed_size: 0
    .kernarg_segment_align: 8
    .kernarg_segment_size: 80
    .language:       OpenCL C
    .language_version:
      - 2
      - 0
    .max_flat_workgroup_size: 256
    .name:           _ZN7rocprim17ROCPRIM_400000_NS6detail17trampoline_kernelINS0_14default_configENS1_22reduce_config_selectorIN6thrust23THRUST_200600_302600_NS5tupleIbffNS6_9null_typeES8_S8_S8_S8_S8_S8_EEEEZNS1_11reduce_implILb1ES3_NS6_11hip_rocprim26transform_input_iterator_tIS9_NS6_12zip_iteratorINS7_INS6_17counting_iteratorIiNS6_11use_defaultESG_SG_EENS6_6detail15normal_iteratorINS6_10device_ptrIfEEEES8_S8_S8_S8_S8_S8_S8_S8_EEEE15transform_tupleIifEEEPS9_S9_12reduce_tupleIifEEE10hipError_tPvRmT1_T2_T3_mT4_P12ihipStream_tbEUlT_E0_NS1_11comp_targetILNS1_3genE9ELNS1_11target_archE1100ELNS1_3gpuE3ELNS1_3repE0EEENS1_30default_config_static_selectorELNS0_4arch9wavefront6targetE0EEEvSY_
    .private_segment_fixed_size: 0
    .sgpr_count:     0
    .sgpr_spill_count: 0
    .symbol:         _ZN7rocprim17ROCPRIM_400000_NS6detail17trampoline_kernelINS0_14default_configENS1_22reduce_config_selectorIN6thrust23THRUST_200600_302600_NS5tupleIbffNS6_9null_typeES8_S8_S8_S8_S8_S8_EEEEZNS1_11reduce_implILb1ES3_NS6_11hip_rocprim26transform_input_iterator_tIS9_NS6_12zip_iteratorINS7_INS6_17counting_iteratorIiNS6_11use_defaultESG_SG_EENS6_6detail15normal_iteratorINS6_10device_ptrIfEEEES8_S8_S8_S8_S8_S8_S8_S8_EEEE15transform_tupleIifEEEPS9_S9_12reduce_tupleIifEEE10hipError_tPvRmT1_T2_T3_mT4_P12ihipStream_tbEUlT_E0_NS1_11comp_targetILNS1_3genE9ELNS1_11target_archE1100ELNS1_3gpuE3ELNS1_3repE0EEENS1_30default_config_static_selectorELNS0_4arch9wavefront6targetE0EEEvSY_.kd
    .uniform_work_group_size: 1
    .uses_dynamic_stack: false
    .vgpr_count:     0
    .vgpr_spill_count: 0
    .wavefront_size: 32
  - .args:
      - .offset:         0
        .size:           80
        .value_kind:     by_value
    .group_segment_fixed_size: 0
    .kernarg_segment_align: 8
    .kernarg_segment_size: 80
    .language:       OpenCL C
    .language_version:
      - 2
      - 0
    .max_flat_workgroup_size: 256
    .name:           _ZN7rocprim17ROCPRIM_400000_NS6detail17trampoline_kernelINS0_14default_configENS1_22reduce_config_selectorIN6thrust23THRUST_200600_302600_NS5tupleIbffNS6_9null_typeES8_S8_S8_S8_S8_S8_EEEEZNS1_11reduce_implILb1ES3_NS6_11hip_rocprim26transform_input_iterator_tIS9_NS6_12zip_iteratorINS7_INS6_17counting_iteratorIiNS6_11use_defaultESG_SG_EENS6_6detail15normal_iteratorINS6_10device_ptrIfEEEES8_S8_S8_S8_S8_S8_S8_S8_EEEE15transform_tupleIifEEEPS9_S9_12reduce_tupleIifEEE10hipError_tPvRmT1_T2_T3_mT4_P12ihipStream_tbEUlT_E0_NS1_11comp_targetILNS1_3genE8ELNS1_11target_archE1030ELNS1_3gpuE2ELNS1_3repE0EEENS1_30default_config_static_selectorELNS0_4arch9wavefront6targetE0EEEvSY_
    .private_segment_fixed_size: 0
    .sgpr_count:     0
    .sgpr_spill_count: 0
    .symbol:         _ZN7rocprim17ROCPRIM_400000_NS6detail17trampoline_kernelINS0_14default_configENS1_22reduce_config_selectorIN6thrust23THRUST_200600_302600_NS5tupleIbffNS6_9null_typeES8_S8_S8_S8_S8_S8_EEEEZNS1_11reduce_implILb1ES3_NS6_11hip_rocprim26transform_input_iterator_tIS9_NS6_12zip_iteratorINS7_INS6_17counting_iteratorIiNS6_11use_defaultESG_SG_EENS6_6detail15normal_iteratorINS6_10device_ptrIfEEEES8_S8_S8_S8_S8_S8_S8_S8_EEEE15transform_tupleIifEEEPS9_S9_12reduce_tupleIifEEE10hipError_tPvRmT1_T2_T3_mT4_P12ihipStream_tbEUlT_E0_NS1_11comp_targetILNS1_3genE8ELNS1_11target_archE1030ELNS1_3gpuE2ELNS1_3repE0EEENS1_30default_config_static_selectorELNS0_4arch9wavefront6targetE0EEEvSY_.kd
    .uniform_work_group_size: 1
    .uses_dynamic_stack: false
    .vgpr_count:     0
    .vgpr_spill_count: 0
    .wavefront_size: 32
  - .args:
      - .offset:         0
        .size:           64
        .value_kind:     by_value
    .group_segment_fixed_size: 288
    .kernarg_segment_align: 8
    .kernarg_segment_size: 64
    .language:       OpenCL C
    .language_version:
      - 2
      - 0
    .max_flat_workgroup_size: 128
    .name:           _ZN7rocprim17ROCPRIM_400000_NS6detail17trampoline_kernelINS0_14default_configENS1_22reduce_config_selectorIN6thrust23THRUST_200600_302600_NS5tupleIbffNS6_9null_typeES8_S8_S8_S8_S8_S8_EEEEZNS1_11reduce_implILb1ES3_NS6_11hip_rocprim26transform_input_iterator_tIS9_NS6_12zip_iteratorINS7_INS6_17counting_iteratorIiNS6_11use_defaultESG_SG_EENS6_6detail15normal_iteratorINS6_10device_ptrIfEEEES8_S8_S8_S8_S8_S8_S8_S8_EEEE15transform_tupleIifEEEPS9_S9_12reduce_tupleIifEEE10hipError_tPvRmT1_T2_T3_mT4_P12ihipStream_tbEUlT_E1_NS1_11comp_targetILNS1_3genE0ELNS1_11target_archE4294967295ELNS1_3gpuE0ELNS1_3repE0EEENS1_30default_config_static_selectorELNS0_4arch9wavefront6targetE0EEEvSY_
    .private_segment_fixed_size: 0
    .sgpr_count:     41
    .sgpr_spill_count: 0
    .symbol:         _ZN7rocprim17ROCPRIM_400000_NS6detail17trampoline_kernelINS0_14default_configENS1_22reduce_config_selectorIN6thrust23THRUST_200600_302600_NS5tupleIbffNS6_9null_typeES8_S8_S8_S8_S8_S8_EEEEZNS1_11reduce_implILb1ES3_NS6_11hip_rocprim26transform_input_iterator_tIS9_NS6_12zip_iteratorINS7_INS6_17counting_iteratorIiNS6_11use_defaultESG_SG_EENS6_6detail15normal_iteratorINS6_10device_ptrIfEEEES8_S8_S8_S8_S8_S8_S8_S8_EEEE15transform_tupleIifEEEPS9_S9_12reduce_tupleIifEEE10hipError_tPvRmT1_T2_T3_mT4_P12ihipStream_tbEUlT_E1_NS1_11comp_targetILNS1_3genE0ELNS1_11target_archE4294967295ELNS1_3gpuE0ELNS1_3repE0EEENS1_30default_config_static_selectorELNS0_4arch9wavefront6targetE0EEEvSY_.kd
    .uniform_work_group_size: 1
    .uses_dynamic_stack: false
    .vgpr_count:     35
    .vgpr_spill_count: 0
    .wavefront_size: 32
  - .args:
      - .offset:         0
        .size:           64
        .value_kind:     by_value
    .group_segment_fixed_size: 0
    .kernarg_segment_align: 8
    .kernarg_segment_size: 64
    .language:       OpenCL C
    .language_version:
      - 2
      - 0
    .max_flat_workgroup_size: 256
    .name:           _ZN7rocprim17ROCPRIM_400000_NS6detail17trampoline_kernelINS0_14default_configENS1_22reduce_config_selectorIN6thrust23THRUST_200600_302600_NS5tupleIbffNS6_9null_typeES8_S8_S8_S8_S8_S8_EEEEZNS1_11reduce_implILb1ES3_NS6_11hip_rocprim26transform_input_iterator_tIS9_NS6_12zip_iteratorINS7_INS6_17counting_iteratorIiNS6_11use_defaultESG_SG_EENS6_6detail15normal_iteratorINS6_10device_ptrIfEEEES8_S8_S8_S8_S8_S8_S8_S8_EEEE15transform_tupleIifEEEPS9_S9_12reduce_tupleIifEEE10hipError_tPvRmT1_T2_T3_mT4_P12ihipStream_tbEUlT_E1_NS1_11comp_targetILNS1_3genE5ELNS1_11target_archE942ELNS1_3gpuE9ELNS1_3repE0EEENS1_30default_config_static_selectorELNS0_4arch9wavefront6targetE0EEEvSY_
    .private_segment_fixed_size: 0
    .sgpr_count:     0
    .sgpr_spill_count: 0
    .symbol:         _ZN7rocprim17ROCPRIM_400000_NS6detail17trampoline_kernelINS0_14default_configENS1_22reduce_config_selectorIN6thrust23THRUST_200600_302600_NS5tupleIbffNS6_9null_typeES8_S8_S8_S8_S8_S8_EEEEZNS1_11reduce_implILb1ES3_NS6_11hip_rocprim26transform_input_iterator_tIS9_NS6_12zip_iteratorINS7_INS6_17counting_iteratorIiNS6_11use_defaultESG_SG_EENS6_6detail15normal_iteratorINS6_10device_ptrIfEEEES8_S8_S8_S8_S8_S8_S8_S8_EEEE15transform_tupleIifEEEPS9_S9_12reduce_tupleIifEEE10hipError_tPvRmT1_T2_T3_mT4_P12ihipStream_tbEUlT_E1_NS1_11comp_targetILNS1_3genE5ELNS1_11target_archE942ELNS1_3gpuE9ELNS1_3repE0EEENS1_30default_config_static_selectorELNS0_4arch9wavefront6targetE0EEEvSY_.kd
    .uniform_work_group_size: 1
    .uses_dynamic_stack: false
    .vgpr_count:     0
    .vgpr_spill_count: 0
    .wavefront_size: 32
  - .args:
      - .offset:         0
        .size:           64
        .value_kind:     by_value
    .group_segment_fixed_size: 0
    .kernarg_segment_align: 8
    .kernarg_segment_size: 64
    .language:       OpenCL C
    .language_version:
      - 2
      - 0
    .max_flat_workgroup_size: 256
    .name:           _ZN7rocprim17ROCPRIM_400000_NS6detail17trampoline_kernelINS0_14default_configENS1_22reduce_config_selectorIN6thrust23THRUST_200600_302600_NS5tupleIbffNS6_9null_typeES8_S8_S8_S8_S8_S8_EEEEZNS1_11reduce_implILb1ES3_NS6_11hip_rocprim26transform_input_iterator_tIS9_NS6_12zip_iteratorINS7_INS6_17counting_iteratorIiNS6_11use_defaultESG_SG_EENS6_6detail15normal_iteratorINS6_10device_ptrIfEEEES8_S8_S8_S8_S8_S8_S8_S8_EEEE15transform_tupleIifEEEPS9_S9_12reduce_tupleIifEEE10hipError_tPvRmT1_T2_T3_mT4_P12ihipStream_tbEUlT_E1_NS1_11comp_targetILNS1_3genE4ELNS1_11target_archE910ELNS1_3gpuE8ELNS1_3repE0EEENS1_30default_config_static_selectorELNS0_4arch9wavefront6targetE0EEEvSY_
    .private_segment_fixed_size: 0
    .sgpr_count:     0
    .sgpr_spill_count: 0
    .symbol:         _ZN7rocprim17ROCPRIM_400000_NS6detail17trampoline_kernelINS0_14default_configENS1_22reduce_config_selectorIN6thrust23THRUST_200600_302600_NS5tupleIbffNS6_9null_typeES8_S8_S8_S8_S8_S8_EEEEZNS1_11reduce_implILb1ES3_NS6_11hip_rocprim26transform_input_iterator_tIS9_NS6_12zip_iteratorINS7_INS6_17counting_iteratorIiNS6_11use_defaultESG_SG_EENS6_6detail15normal_iteratorINS6_10device_ptrIfEEEES8_S8_S8_S8_S8_S8_S8_S8_EEEE15transform_tupleIifEEEPS9_S9_12reduce_tupleIifEEE10hipError_tPvRmT1_T2_T3_mT4_P12ihipStream_tbEUlT_E1_NS1_11comp_targetILNS1_3genE4ELNS1_11target_archE910ELNS1_3gpuE8ELNS1_3repE0EEENS1_30default_config_static_selectorELNS0_4arch9wavefront6targetE0EEEvSY_.kd
    .uniform_work_group_size: 1
    .uses_dynamic_stack: false
    .vgpr_count:     0
    .vgpr_spill_count: 0
    .wavefront_size: 32
  - .args:
      - .offset:         0
        .size:           64
        .value_kind:     by_value
    .group_segment_fixed_size: 0
    .kernarg_segment_align: 8
    .kernarg_segment_size: 64
    .language:       OpenCL C
    .language_version:
      - 2
      - 0
    .max_flat_workgroup_size: 128
    .name:           _ZN7rocprim17ROCPRIM_400000_NS6detail17trampoline_kernelINS0_14default_configENS1_22reduce_config_selectorIN6thrust23THRUST_200600_302600_NS5tupleIbffNS6_9null_typeES8_S8_S8_S8_S8_S8_EEEEZNS1_11reduce_implILb1ES3_NS6_11hip_rocprim26transform_input_iterator_tIS9_NS6_12zip_iteratorINS7_INS6_17counting_iteratorIiNS6_11use_defaultESG_SG_EENS6_6detail15normal_iteratorINS6_10device_ptrIfEEEES8_S8_S8_S8_S8_S8_S8_S8_EEEE15transform_tupleIifEEEPS9_S9_12reduce_tupleIifEEE10hipError_tPvRmT1_T2_T3_mT4_P12ihipStream_tbEUlT_E1_NS1_11comp_targetILNS1_3genE3ELNS1_11target_archE908ELNS1_3gpuE7ELNS1_3repE0EEENS1_30default_config_static_selectorELNS0_4arch9wavefront6targetE0EEEvSY_
    .private_segment_fixed_size: 0
    .sgpr_count:     0
    .sgpr_spill_count: 0
    .symbol:         _ZN7rocprim17ROCPRIM_400000_NS6detail17trampoline_kernelINS0_14default_configENS1_22reduce_config_selectorIN6thrust23THRUST_200600_302600_NS5tupleIbffNS6_9null_typeES8_S8_S8_S8_S8_S8_EEEEZNS1_11reduce_implILb1ES3_NS6_11hip_rocprim26transform_input_iterator_tIS9_NS6_12zip_iteratorINS7_INS6_17counting_iteratorIiNS6_11use_defaultESG_SG_EENS6_6detail15normal_iteratorINS6_10device_ptrIfEEEES8_S8_S8_S8_S8_S8_S8_S8_EEEE15transform_tupleIifEEEPS9_S9_12reduce_tupleIifEEE10hipError_tPvRmT1_T2_T3_mT4_P12ihipStream_tbEUlT_E1_NS1_11comp_targetILNS1_3genE3ELNS1_11target_archE908ELNS1_3gpuE7ELNS1_3repE0EEENS1_30default_config_static_selectorELNS0_4arch9wavefront6targetE0EEEvSY_.kd
    .uniform_work_group_size: 1
    .uses_dynamic_stack: false
    .vgpr_count:     0
    .vgpr_spill_count: 0
    .wavefront_size: 32
  - .args:
      - .offset:         0
        .size:           64
        .value_kind:     by_value
    .group_segment_fixed_size: 0
    .kernarg_segment_align: 8
    .kernarg_segment_size: 64
    .language:       OpenCL C
    .language_version:
      - 2
      - 0
    .max_flat_workgroup_size: 128
    .name:           _ZN7rocprim17ROCPRIM_400000_NS6detail17trampoline_kernelINS0_14default_configENS1_22reduce_config_selectorIN6thrust23THRUST_200600_302600_NS5tupleIbffNS6_9null_typeES8_S8_S8_S8_S8_S8_EEEEZNS1_11reduce_implILb1ES3_NS6_11hip_rocprim26transform_input_iterator_tIS9_NS6_12zip_iteratorINS7_INS6_17counting_iteratorIiNS6_11use_defaultESG_SG_EENS6_6detail15normal_iteratorINS6_10device_ptrIfEEEES8_S8_S8_S8_S8_S8_S8_S8_EEEE15transform_tupleIifEEEPS9_S9_12reduce_tupleIifEEE10hipError_tPvRmT1_T2_T3_mT4_P12ihipStream_tbEUlT_E1_NS1_11comp_targetILNS1_3genE2ELNS1_11target_archE906ELNS1_3gpuE6ELNS1_3repE0EEENS1_30default_config_static_selectorELNS0_4arch9wavefront6targetE0EEEvSY_
    .private_segment_fixed_size: 0
    .sgpr_count:     0
    .sgpr_spill_count: 0
    .symbol:         _ZN7rocprim17ROCPRIM_400000_NS6detail17trampoline_kernelINS0_14default_configENS1_22reduce_config_selectorIN6thrust23THRUST_200600_302600_NS5tupleIbffNS6_9null_typeES8_S8_S8_S8_S8_S8_EEEEZNS1_11reduce_implILb1ES3_NS6_11hip_rocprim26transform_input_iterator_tIS9_NS6_12zip_iteratorINS7_INS6_17counting_iteratorIiNS6_11use_defaultESG_SG_EENS6_6detail15normal_iteratorINS6_10device_ptrIfEEEES8_S8_S8_S8_S8_S8_S8_S8_EEEE15transform_tupleIifEEEPS9_S9_12reduce_tupleIifEEE10hipError_tPvRmT1_T2_T3_mT4_P12ihipStream_tbEUlT_E1_NS1_11comp_targetILNS1_3genE2ELNS1_11target_archE906ELNS1_3gpuE6ELNS1_3repE0EEENS1_30default_config_static_selectorELNS0_4arch9wavefront6targetE0EEEvSY_.kd
    .uniform_work_group_size: 1
    .uses_dynamic_stack: false
    .vgpr_count:     0
    .vgpr_spill_count: 0
    .wavefront_size: 32
  - .args:
      - .offset:         0
        .size:           64
        .value_kind:     by_value
    .group_segment_fixed_size: 0
    .kernarg_segment_align: 8
    .kernarg_segment_size: 64
    .language:       OpenCL C
    .language_version:
      - 2
      - 0
    .max_flat_workgroup_size: 256
    .name:           _ZN7rocprim17ROCPRIM_400000_NS6detail17trampoline_kernelINS0_14default_configENS1_22reduce_config_selectorIN6thrust23THRUST_200600_302600_NS5tupleIbffNS6_9null_typeES8_S8_S8_S8_S8_S8_EEEEZNS1_11reduce_implILb1ES3_NS6_11hip_rocprim26transform_input_iterator_tIS9_NS6_12zip_iteratorINS7_INS6_17counting_iteratorIiNS6_11use_defaultESG_SG_EENS6_6detail15normal_iteratorINS6_10device_ptrIfEEEES8_S8_S8_S8_S8_S8_S8_S8_EEEE15transform_tupleIifEEEPS9_S9_12reduce_tupleIifEEE10hipError_tPvRmT1_T2_T3_mT4_P12ihipStream_tbEUlT_E1_NS1_11comp_targetILNS1_3genE10ELNS1_11target_archE1201ELNS1_3gpuE5ELNS1_3repE0EEENS1_30default_config_static_selectorELNS0_4arch9wavefront6targetE0EEEvSY_
    .private_segment_fixed_size: 0
    .sgpr_count:     0
    .sgpr_spill_count: 0
    .symbol:         _ZN7rocprim17ROCPRIM_400000_NS6detail17trampoline_kernelINS0_14default_configENS1_22reduce_config_selectorIN6thrust23THRUST_200600_302600_NS5tupleIbffNS6_9null_typeES8_S8_S8_S8_S8_S8_EEEEZNS1_11reduce_implILb1ES3_NS6_11hip_rocprim26transform_input_iterator_tIS9_NS6_12zip_iteratorINS7_INS6_17counting_iteratorIiNS6_11use_defaultESG_SG_EENS6_6detail15normal_iteratorINS6_10device_ptrIfEEEES8_S8_S8_S8_S8_S8_S8_S8_EEEE15transform_tupleIifEEEPS9_S9_12reduce_tupleIifEEE10hipError_tPvRmT1_T2_T3_mT4_P12ihipStream_tbEUlT_E1_NS1_11comp_targetILNS1_3genE10ELNS1_11target_archE1201ELNS1_3gpuE5ELNS1_3repE0EEENS1_30default_config_static_selectorELNS0_4arch9wavefront6targetE0EEEvSY_.kd
    .uniform_work_group_size: 1
    .uses_dynamic_stack: false
    .vgpr_count:     0
    .vgpr_spill_count: 0
    .wavefront_size: 32
  - .args:
      - .offset:         0
        .size:           64
        .value_kind:     by_value
    .group_segment_fixed_size: 0
    .kernarg_segment_align: 8
    .kernarg_segment_size: 64
    .language:       OpenCL C
    .language_version:
      - 2
      - 0
    .max_flat_workgroup_size: 256
    .name:           _ZN7rocprim17ROCPRIM_400000_NS6detail17trampoline_kernelINS0_14default_configENS1_22reduce_config_selectorIN6thrust23THRUST_200600_302600_NS5tupleIbffNS6_9null_typeES8_S8_S8_S8_S8_S8_EEEEZNS1_11reduce_implILb1ES3_NS6_11hip_rocprim26transform_input_iterator_tIS9_NS6_12zip_iteratorINS7_INS6_17counting_iteratorIiNS6_11use_defaultESG_SG_EENS6_6detail15normal_iteratorINS6_10device_ptrIfEEEES8_S8_S8_S8_S8_S8_S8_S8_EEEE15transform_tupleIifEEEPS9_S9_12reduce_tupleIifEEE10hipError_tPvRmT1_T2_T3_mT4_P12ihipStream_tbEUlT_E1_NS1_11comp_targetILNS1_3genE10ELNS1_11target_archE1200ELNS1_3gpuE4ELNS1_3repE0EEENS1_30default_config_static_selectorELNS0_4arch9wavefront6targetE0EEEvSY_
    .private_segment_fixed_size: 0
    .sgpr_count:     0
    .sgpr_spill_count: 0
    .symbol:         _ZN7rocprim17ROCPRIM_400000_NS6detail17trampoline_kernelINS0_14default_configENS1_22reduce_config_selectorIN6thrust23THRUST_200600_302600_NS5tupleIbffNS6_9null_typeES8_S8_S8_S8_S8_S8_EEEEZNS1_11reduce_implILb1ES3_NS6_11hip_rocprim26transform_input_iterator_tIS9_NS6_12zip_iteratorINS7_INS6_17counting_iteratorIiNS6_11use_defaultESG_SG_EENS6_6detail15normal_iteratorINS6_10device_ptrIfEEEES8_S8_S8_S8_S8_S8_S8_S8_EEEE15transform_tupleIifEEEPS9_S9_12reduce_tupleIifEEE10hipError_tPvRmT1_T2_T3_mT4_P12ihipStream_tbEUlT_E1_NS1_11comp_targetILNS1_3genE10ELNS1_11target_archE1200ELNS1_3gpuE4ELNS1_3repE0EEENS1_30default_config_static_selectorELNS0_4arch9wavefront6targetE0EEEvSY_.kd
    .uniform_work_group_size: 1
    .uses_dynamic_stack: false
    .vgpr_count:     0
    .vgpr_spill_count: 0
    .wavefront_size: 32
  - .args:
      - .offset:         0
        .size:           64
        .value_kind:     by_value
    .group_segment_fixed_size: 0
    .kernarg_segment_align: 8
    .kernarg_segment_size: 64
    .language:       OpenCL C
    .language_version:
      - 2
      - 0
    .max_flat_workgroup_size: 256
    .name:           _ZN7rocprim17ROCPRIM_400000_NS6detail17trampoline_kernelINS0_14default_configENS1_22reduce_config_selectorIN6thrust23THRUST_200600_302600_NS5tupleIbffNS6_9null_typeES8_S8_S8_S8_S8_S8_EEEEZNS1_11reduce_implILb1ES3_NS6_11hip_rocprim26transform_input_iterator_tIS9_NS6_12zip_iteratorINS7_INS6_17counting_iteratorIiNS6_11use_defaultESG_SG_EENS6_6detail15normal_iteratorINS6_10device_ptrIfEEEES8_S8_S8_S8_S8_S8_S8_S8_EEEE15transform_tupleIifEEEPS9_S9_12reduce_tupleIifEEE10hipError_tPvRmT1_T2_T3_mT4_P12ihipStream_tbEUlT_E1_NS1_11comp_targetILNS1_3genE9ELNS1_11target_archE1100ELNS1_3gpuE3ELNS1_3repE0EEENS1_30default_config_static_selectorELNS0_4arch9wavefront6targetE0EEEvSY_
    .private_segment_fixed_size: 0
    .sgpr_count:     0
    .sgpr_spill_count: 0
    .symbol:         _ZN7rocprim17ROCPRIM_400000_NS6detail17trampoline_kernelINS0_14default_configENS1_22reduce_config_selectorIN6thrust23THRUST_200600_302600_NS5tupleIbffNS6_9null_typeES8_S8_S8_S8_S8_S8_EEEEZNS1_11reduce_implILb1ES3_NS6_11hip_rocprim26transform_input_iterator_tIS9_NS6_12zip_iteratorINS7_INS6_17counting_iteratorIiNS6_11use_defaultESG_SG_EENS6_6detail15normal_iteratorINS6_10device_ptrIfEEEES8_S8_S8_S8_S8_S8_S8_S8_EEEE15transform_tupleIifEEEPS9_S9_12reduce_tupleIifEEE10hipError_tPvRmT1_T2_T3_mT4_P12ihipStream_tbEUlT_E1_NS1_11comp_targetILNS1_3genE9ELNS1_11target_archE1100ELNS1_3gpuE3ELNS1_3repE0EEENS1_30default_config_static_selectorELNS0_4arch9wavefront6targetE0EEEvSY_.kd
    .uniform_work_group_size: 1
    .uses_dynamic_stack: false
    .vgpr_count:     0
    .vgpr_spill_count: 0
    .wavefront_size: 32
  - .args:
      - .offset:         0
        .size:           64
        .value_kind:     by_value
    .group_segment_fixed_size: 0
    .kernarg_segment_align: 8
    .kernarg_segment_size: 64
    .language:       OpenCL C
    .language_version:
      - 2
      - 0
    .max_flat_workgroup_size: 256
    .name:           _ZN7rocprim17ROCPRIM_400000_NS6detail17trampoline_kernelINS0_14default_configENS1_22reduce_config_selectorIN6thrust23THRUST_200600_302600_NS5tupleIbffNS6_9null_typeES8_S8_S8_S8_S8_S8_EEEEZNS1_11reduce_implILb1ES3_NS6_11hip_rocprim26transform_input_iterator_tIS9_NS6_12zip_iteratorINS7_INS6_17counting_iteratorIiNS6_11use_defaultESG_SG_EENS6_6detail15normal_iteratorINS6_10device_ptrIfEEEES8_S8_S8_S8_S8_S8_S8_S8_EEEE15transform_tupleIifEEEPS9_S9_12reduce_tupleIifEEE10hipError_tPvRmT1_T2_T3_mT4_P12ihipStream_tbEUlT_E1_NS1_11comp_targetILNS1_3genE8ELNS1_11target_archE1030ELNS1_3gpuE2ELNS1_3repE0EEENS1_30default_config_static_selectorELNS0_4arch9wavefront6targetE0EEEvSY_
    .private_segment_fixed_size: 0
    .sgpr_count:     0
    .sgpr_spill_count: 0
    .symbol:         _ZN7rocprim17ROCPRIM_400000_NS6detail17trampoline_kernelINS0_14default_configENS1_22reduce_config_selectorIN6thrust23THRUST_200600_302600_NS5tupleIbffNS6_9null_typeES8_S8_S8_S8_S8_S8_EEEEZNS1_11reduce_implILb1ES3_NS6_11hip_rocprim26transform_input_iterator_tIS9_NS6_12zip_iteratorINS7_INS6_17counting_iteratorIiNS6_11use_defaultESG_SG_EENS6_6detail15normal_iteratorINS6_10device_ptrIfEEEES8_S8_S8_S8_S8_S8_S8_S8_EEEE15transform_tupleIifEEEPS9_S9_12reduce_tupleIifEEE10hipError_tPvRmT1_T2_T3_mT4_P12ihipStream_tbEUlT_E1_NS1_11comp_targetILNS1_3genE8ELNS1_11target_archE1030ELNS1_3gpuE2ELNS1_3repE0EEENS1_30default_config_static_selectorELNS0_4arch9wavefront6targetE0EEEvSY_.kd
    .uniform_work_group_size: 1
    .uses_dynamic_stack: false
    .vgpr_count:     0
    .vgpr_spill_count: 0
    .wavefront_size: 32
  - .args:
      - .offset:         0
        .size:           16
        .value_kind:     by_value
      - .offset:         16
        .size:           8
        .value_kind:     by_value
      - .offset:         24
        .size:           8
        .value_kind:     by_value
    .group_segment_fixed_size: 0
    .kernarg_segment_align: 8
    .kernarg_segment_size: 32
    .language:       OpenCL C
    .language_version:
      - 2
      - 0
    .max_flat_workgroup_size: 256
    .name:           _ZN6thrust23THRUST_200600_302600_NS11hip_rocprim14__parallel_for6kernelILj256ENS1_10for_each_fINS0_7pointerINS0_5tupleIbffNS0_9null_typeES7_S7_S7_S7_S7_S7_EENS1_3tagENS0_11use_defaultESA_EENS0_6detail16wrapped_functionINSC_23allocator_traits_detail24construct1_via_allocatorINSC_18no_throw_allocatorINSC_19temporary_allocatorIS8_S9_EEEEEEvEEEEmLj1EEEvT0_T1_SO_
    .private_segment_fixed_size: 0
    .sgpr_count:     11
    .sgpr_spill_count: 0
    .symbol:         _ZN6thrust23THRUST_200600_302600_NS11hip_rocprim14__parallel_for6kernelILj256ENS1_10for_each_fINS0_7pointerINS0_5tupleIbffNS0_9null_typeES7_S7_S7_S7_S7_S7_EENS1_3tagENS0_11use_defaultESA_EENS0_6detail16wrapped_functionINSC_23allocator_traits_detail24construct1_via_allocatorINSC_18no_throw_allocatorINSC_19temporary_allocatorIS8_S9_EEEEEEvEEEEmLj1EEEvT0_T1_SO_.kd
    .uniform_work_group_size: 1
    .uses_dynamic_stack: false
    .vgpr_count:     6
    .vgpr_spill_count: 0
    .wavefront_size: 32
  - .args:
      - .offset:         0
        .size:           16
        .value_kind:     by_value
      - .offset:         16
        .size:           8
        .value_kind:     by_value
      - .offset:         24
        .size:           8
        .value_kind:     by_value
    .group_segment_fixed_size: 0
    .kernarg_segment_align: 8
    .kernarg_segment_size: 32
    .language:       OpenCL C
    .language_version:
      - 2
      - 0
    .max_flat_workgroup_size: 256
    .name:           _ZN6thrust23THRUST_200600_302600_NS11hip_rocprim14__parallel_for6kernelILj256ENS1_10for_each_fINS0_7pointerINS0_5tupleIbffNS0_9null_typeES7_S7_S7_S7_S7_S7_EENS1_3tagENS0_11use_defaultESA_EENS0_6detail16wrapped_functionINSC_23allocator_traits_detail5gozerEvEEEElLj1EEEvT0_T1_SJ_
    .private_segment_fixed_size: 0
    .sgpr_count:     0
    .sgpr_spill_count: 0
    .symbol:         _ZN6thrust23THRUST_200600_302600_NS11hip_rocprim14__parallel_for6kernelILj256ENS1_10for_each_fINS0_7pointerINS0_5tupleIbffNS0_9null_typeES7_S7_S7_S7_S7_S7_EENS1_3tagENS0_11use_defaultESA_EENS0_6detail16wrapped_functionINSC_23allocator_traits_detail5gozerEvEEEElLj1EEEvT0_T1_SJ_.kd
    .uniform_work_group_size: 1
    .uses_dynamic_stack: false
    .vgpr_count:     0
    .vgpr_spill_count: 0
    .wavefront_size: 32
  - .args:
      - .offset:         0
        .size:           16
        .value_kind:     by_value
      - .offset:         16
        .size:           8
        .value_kind:     by_value
      - .offset:         24
        .size:           8
        .value_kind:     by_value
    .group_segment_fixed_size: 0
    .kernarg_segment_align: 8
    .kernarg_segment_size: 32
    .language:       OpenCL C
    .language_version:
      - 2
      - 0
    .max_flat_workgroup_size: 256
    .name:           _ZN6thrust23THRUST_200600_302600_NS11hip_rocprim14__parallel_for6kernelILj256ENS1_20__uninitialized_copy7functorIPNS0_5tupleIbffNS0_9null_typeES7_S7_S7_S7_S7_S7_EENS0_7pointerIS8_NS1_3tagENS0_11use_defaultESC_EEEEmLj1EEEvT0_T1_SG_
    .private_segment_fixed_size: 0
    .sgpr_count:     14
    .sgpr_spill_count: 0
    .symbol:         _ZN6thrust23THRUST_200600_302600_NS11hip_rocprim14__parallel_for6kernelILj256ENS1_20__uninitialized_copy7functorIPNS0_5tupleIbffNS0_9null_typeES7_S7_S7_S7_S7_S7_EENS0_7pointerIS8_NS1_3tagENS0_11use_defaultESC_EEEEmLj1EEEvT0_T1_SG_.kd
    .uniform_work_group_size: 1
    .uses_dynamic_stack: false
    .vgpr_count:     6
    .vgpr_spill_count: 0
    .wavefront_size: 32
amdhsa.target:   amdgcn-amd-amdhsa--gfx1250
amdhsa.version:
  - 1
  - 2
...

	.end_amdgpu_metadata
